;; amdgpu-corpus repo=ROCm/rocFFT kind=compiled arch=gfx950 opt=O3
	.text
	.amdgcn_target "amdgcn-amd-amdhsa--gfx950"
	.amdhsa_code_object_version 6
	.protected	fft_rtc_back_len208_factors_13_16_wgs_144_tpt_16_dp_op_CI_CI_sbcc_twdbase6_3step ; -- Begin function fft_rtc_back_len208_factors_13_16_wgs_144_tpt_16_dp_op_CI_CI_sbcc_twdbase6_3step
	.globl	fft_rtc_back_len208_factors_13_16_wgs_144_tpt_16_dp_op_CI_CI_sbcc_twdbase6_3step
	.p2align	8
	.type	fft_rtc_back_len208_factors_13_16_wgs_144_tpt_16_dp_op_CI_CI_sbcc_twdbase6_3step,@function
fft_rtc_back_len208_factors_13_16_wgs_144_tpt_16_dp_op_CI_CI_sbcc_twdbase6_3step: ; @fft_rtc_back_len208_factors_13_16_wgs_144_tpt_16_dp_op_CI_CI_sbcc_twdbase6_3step
; %bb.0:
	s_load_dwordx2 s[26:27], s[0:1], 0x0
	s_load_dwordx8 s[4:11], s[0:1], 0x8
	s_load_dwordx4 s[12:15], s[0:1], 0x60
	s_load_dwordx2 s[30:31], s[0:1], 0x28
	s_movk_i32 s0, 0xc0
	v_cmp_gt_u32_e32 vcc, s0, v0
	s_and_saveexec_b64 s[0:1], vcc
	s_cbranch_execz .LBB0_3
; %bb.1:
	s_movk_i32 s16, 0xff70
	v_mov_b32_e32 v1, 0
	s_mov_b32 s17, -1
	v_lshlrev_b32_e32 v6, 4, v0
	v_lshl_add_u64 v[2:3], v[0:1], 0, s[16:17]
	v_mov_b32_e32 v7, v1
	v_add_u32_e32 v1, 0, v6
	s_waitcnt lgkmcnt(0)
	v_lshl_add_u64 v[4:5], s[4:5], 0, v[6:7]
	v_add_u32_e32 v1, 0x7500, v1
	s_mov_b64 s[4:5], 0
	s_mov_b64 s[16:17], 0x90
	;; [unrolled: 1-line block ×3, first 2 shown]
.LBB0_2:                                ; =>This Inner Loop Header: Depth=1
	global_load_dwordx4 v[6:9], v[4:5], off
	v_lshl_add_u64 v[2:3], v[2:3], 0, s[16:17]
	v_cmp_lt_u64_e32 vcc, 47, v[2:3]
	v_lshl_add_u64 v[4:5], v[4:5], 0, s[18:19]
	s_or_b64 s[4:5], vcc, s[4:5]
	s_waitcnt vmcnt(0)
	ds_write2_b64 v1, v[6:7], v[8:9] offset1:1
	v_add_u32_e32 v1, 0x900, v1
	s_andn2_b64 exec, exec, s[4:5]
	s_cbranch_execnz .LBB0_2
.LBB0_3:
	s_or_b64 exec, exec, s[0:1]
	s_waitcnt lgkmcnt(0)
	s_load_dwordx2 s[34:35], s[8:9], 0x8
	s_mov_b32 s3, 0
	s_mov_b64 s[24:25], 0
	s_waitcnt lgkmcnt(0)
	s_add_u32 s0, s34, -1
	s_addc_u32 s1, s35, -1
	s_add_u32 s4, 0, 0x71c4fc00
	s_addc_u32 s5, 0, 0x7c
	s_mul_hi_u32 s17, s4, -9
	s_add_i32 s5, s5, 0x1c71c6a0
	s_sub_i32 s17, s17, s4
	s_mul_i32 s20, s5, -9
	s_mul_i32 s16, s4, -9
	s_add_i32 s17, s17, s20
	s_mul_hi_u32 s18, s5, s16
	s_mul_i32 s19, s5, s16
	s_mul_i32 s21, s4, s17
	s_mul_hi_u32 s16, s4, s16
	s_mul_hi_u32 s20, s4, s17
	s_add_u32 s16, s16, s21
	s_addc_u32 s20, 0, s20
	s_add_u32 s16, s16, s19
	s_mul_hi_u32 s21, s5, s17
	s_addc_u32 s16, s20, s18
	s_addc_u32 s18, s21, 0
	s_mul_i32 s17, s5, s17
	s_add_u32 s16, s16, s17
	v_mov_b32_e32 v1, s16
	s_addc_u32 s17, 0, s18
	v_add_co_u32_e32 v1, vcc, s4, v1
	s_cmp_lg_u64 vcc, 0
	s_addc_u32 s4, s5, s17
	v_readfirstlane_b32 s17, v1
	s_mul_i32 s16, s0, s4
	s_mul_hi_u32 s18, s0, s17
	s_mul_hi_u32 s5, s0, s4
	s_add_u32 s16, s18, s16
	s_addc_u32 s5, 0, s5
	s_mul_hi_u32 s19, s1, s17
	s_mul_i32 s17, s1, s17
	s_add_u32 s16, s16, s17
	s_mul_hi_u32 s18, s1, s4
	s_addc_u32 s5, s5, s19
	s_addc_u32 s16, s18, 0
	s_mul_i32 s4, s1, s4
	s_add_u32 s4, s5, s4
	s_addc_u32 s5, 0, s16
	s_add_u32 s16, s4, 1
	s_addc_u32 s17, s5, 0
	s_add_u32 s18, s4, 2
	s_mul_i32 s20, s5, 9
	s_mul_hi_u32 s21, s4, 9
	s_addc_u32 s19, s5, 0
	s_add_i32 s21, s21, s20
	s_mul_i32 s20, s4, 9
	v_mov_b32_e32 v1, s20
	v_sub_co_u32_e32 v1, vcc, s0, v1
	s_cmp_lg_u64 vcc, 0
	s_subb_u32 s0, s1, s21
	v_subrev_co_u32_e32 v2, vcc, 9, v1
	s_cmp_lg_u64 vcc, 0
	s_subb_u32 s1, s0, 0
	v_readfirstlane_b32 s20, v2
	s_cmp_gt_u32 s20, 8
	s_cselect_b32 s20, -1, 0
	s_cmp_eq_u32 s1, 0
	s_cselect_b32 s1, s20, -1
	s_cmp_lg_u32 s1, 0
	s_cselect_b32 s1, s18, s16
	s_cselect_b32 s16, s19, s17
	v_readfirstlane_b32 s17, v1
	s_cmp_gt_u32 s17, 8
	s_cselect_b32 s17, -1, 0
	s_cmp_eq_u32 s0, 0
	s_cselect_b32 s0, s17, -1
	s_cmp_lg_u32 s0, 0
	s_cselect_b32 s1, s1, s4
	s_cselect_b32 s0, s16, s5
	s_add_u32 s38, s1, 1
	s_addc_u32 s39, s0, 0
	v_mov_b64_e32 v[2:3], s[38:39]
	v_cmp_lt_u64_e32 vcc, s[2:3], v[2:3]
	s_cbranch_vccnz .LBB0_5
; %bb.4:
	v_cvt_f32_u32_e32 v1, s38
	s_sub_i32 s0, 0, s38
	s_mov_b32 s25, s3
	v_rcp_iflag_f32_e32 v1, v1
	s_nop 0
	v_mul_f32_e32 v1, 0x4f7ffffe, v1
	v_cvt_u32_f32_e32 v1, v1
	s_nop 0
	v_readfirstlane_b32 s1, v1
	s_mul_i32 s0, s0, s1
	s_mul_hi_u32 s0, s1, s0
	s_add_i32 s1, s1, s0
	s_mul_hi_u32 s0, s2, s1
	s_mul_i32 s4, s0, s38
	s_sub_i32 s4, s2, s4
	s_add_i32 s1, s0, 1
	s_sub_i32 s5, s4, s38
	s_cmp_ge_u32 s4, s38
	s_cselect_b32 s0, s1, s0
	s_cselect_b32 s4, s5, s4
	s_add_i32 s1, s0, 1
	s_cmp_ge_u32 s4, s38
	s_cselect_b32 s24, s1, s0
.LBB0_5:
	s_mul_i32 s0, s24, s39
	s_mul_hi_u32 s1, s24, s38
	s_add_i32 s1, s1, s0
	s_mul_i32 s0, s24, s38
	s_load_dwordx4 s[20:23], s[10:11], 0x0
	s_load_dwordx4 s[16:19], s[30:31], 0x0
	s_sub_u32 s0, s2, s0
	s_subb_u32 s1, 0, s1
	s_mul_i32 s1, s1, 9
	s_mul_hi_u32 s4, s0, 9
	s_add_i32 s29, s4, s1
	s_mul_i32 s28, s0, 9
	s_waitcnt lgkmcnt(0)
	s_mul_i32 s0, s22, s29
	s_mul_hi_u32 s1, s22, s28
	s_add_i32 s0, s1, s0
	s_mul_i32 s1, s23, s28
	s_add_i32 s37, s0, s1
	s_mul_i32 s0, s18, s29
	s_mul_hi_u32 s1, s18, s28
	s_add_i32 s0, s1, s0
	s_mul_i32 s1, s19, s28
	s_add_i32 s5, s0, s1
	v_cmp_lt_u64_e64 s[0:1], s[6:7], 3
	s_mul_i32 s36, s22, s28
	s_mul_i32 s4, s18, s28
	s_and_b64 vcc, exec, s[0:1]
	s_cbranch_vccnz .LBB0_15
; %bb.6:
	s_add_u32 s40, s30, 16
	s_addc_u32 s41, s31, 0
	s_add_u32 s42, s10, 16
	s_addc_u32 s43, s11, 0
	;; [unrolled: 2-line block ×3, first 2 shown]
	s_mov_b64 s[44:45], 2
	s_mov_b32 s46, 0
	v_mov_b64_e32 v[2:3], s[6:7]
.LBB0_7:                                ; =>This Inner Loop Header: Depth=1
	s_load_dwordx2 s[48:49], s[8:9], 0x0
	s_waitcnt lgkmcnt(0)
	s_or_b64 s[0:1], s[24:25], s[48:49]
	s_mov_b32 s47, s1
	s_cmp_lg_u64 s[46:47], 0
	s_cbranch_scc0 .LBB0_12
; %bb.8:                                ;   in Loop: Header=BB0_7 Depth=1
	v_cvt_f32_u32_e32 v1, s48
	v_cvt_f32_u32_e32 v4, s49
	s_sub_u32 s0, 0, s48
	s_subb_u32 s1, 0, s49
	v_fmac_f32_e32 v1, 0x4f800000, v4
	v_rcp_f32_e32 v1, v1
	s_nop 0
	v_mul_f32_e32 v1, 0x5f7ffffc, v1
	v_mul_f32_e32 v4, 0x2f800000, v1
	v_trunc_f32_e32 v4, v4
	v_fmac_f32_e32 v1, 0xcf800000, v4
	v_cvt_u32_f32_e32 v4, v4
	v_cvt_u32_f32_e32 v1, v1
	v_readfirstlane_b32 s33, v4
	v_readfirstlane_b32 s47, v1
	s_mul_i32 s50, s0, s33
	s_mul_hi_u32 s52, s0, s47
	s_mul_i32 s51, s1, s47
	s_add_i32 s50, s52, s50
	s_mul_i32 s53, s0, s47
	s_add_i32 s50, s50, s51
	s_mul_hi_u32 s51, s47, s50
	s_mul_i32 s52, s47, s50
	s_mul_hi_u32 s47, s47, s53
	s_add_u32 s47, s47, s52
	s_addc_u32 s51, 0, s51
	s_mul_hi_u32 s54, s33, s53
	s_mul_i32 s53, s33, s53
	s_add_u32 s47, s47, s53
	s_mul_hi_u32 s52, s33, s50
	s_addc_u32 s47, s51, s54
	s_addc_u32 s51, s52, 0
	s_mul_i32 s50, s33, s50
	s_add_u32 s47, s47, s50
	s_addc_u32 s50, 0, s51
	v_add_co_u32_e32 v1, vcc, s47, v1
	s_cmp_lg_u64 vcc, 0
	s_addc_u32 s33, s33, s50
	v_readfirstlane_b32 s50, v1
	s_mul_i32 s47, s0, s33
	s_mul_hi_u32 s51, s0, s50
	s_add_i32 s47, s51, s47
	s_mul_i32 s1, s1, s50
	s_add_i32 s47, s47, s1
	s_mul_i32 s0, s0, s50
	s_mul_hi_u32 s51, s33, s0
	s_mul_i32 s52, s33, s0
	s_mul_i32 s54, s50, s47
	s_mul_hi_u32 s0, s50, s0
	s_mul_hi_u32 s53, s50, s47
	s_add_u32 s0, s0, s54
	s_addc_u32 s50, 0, s53
	s_add_u32 s0, s0, s52
	s_mul_hi_u32 s1, s33, s47
	s_addc_u32 s0, s50, s51
	s_addc_u32 s1, s1, 0
	s_mul_i32 s47, s33, s47
	s_add_u32 s0, s0, s47
	s_addc_u32 s1, 0, s1
	v_add_co_u32_e32 v1, vcc, s0, v1
	s_cmp_lg_u64 vcc, 0
	s_addc_u32 s0, s33, s1
	v_readfirstlane_b32 s47, v1
	s_mul_i32 s33, s24, s0
	s_mul_hi_u32 s50, s24, s47
	s_mul_hi_u32 s1, s24, s0
	s_add_u32 s33, s50, s33
	s_addc_u32 s1, 0, s1
	s_mul_hi_u32 s51, s25, s47
	s_mul_i32 s47, s25, s47
	s_add_u32 s33, s33, s47
	s_mul_hi_u32 s50, s25, s0
	s_addc_u32 s1, s1, s51
	s_addc_u32 s33, s50, 0
	s_mul_i32 s0, s25, s0
	s_add_u32 s47, s1, s0
	s_addc_u32 s33, 0, s33
	s_mul_i32 s0, s48, s33
	s_mul_hi_u32 s1, s48, s47
	s_add_i32 s0, s1, s0
	s_mul_i32 s1, s49, s47
	s_add_i32 s50, s0, s1
	s_mul_i32 s1, s48, s47
	v_mov_b32_e32 v1, s1
	s_sub_i32 s0, s25, s50
	v_sub_co_u32_e32 v1, vcc, s24, v1
	s_cmp_lg_u64 vcc, 0
	s_subb_u32 s51, s0, s49
	v_subrev_co_u32_e64 v4, s[0:1], s48, v1
	s_cmp_lg_u64 s[0:1], 0
	s_subb_u32 s0, s51, 0
	s_cmp_ge_u32 s0, s49
	v_readfirstlane_b32 s51, v4
	s_cselect_b32 s1, -1, 0
	s_cmp_ge_u32 s51, s48
	s_cselect_b32 s51, -1, 0
	s_cmp_eq_u32 s0, s49
	s_cselect_b32 s0, s51, s1
	s_add_u32 s1, s47, 1
	s_addc_u32 s51, s33, 0
	s_add_u32 s52, s47, 2
	s_addc_u32 s53, s33, 0
	s_cmp_lg_u32 s0, 0
	s_cselect_b32 s0, s52, s1
	s_cselect_b32 s1, s53, s51
	s_cmp_lg_u64 vcc, 0
	s_subb_u32 s50, s25, s50
	s_cmp_ge_u32 s50, s49
	v_readfirstlane_b32 s52, v1
	s_cselect_b32 s51, -1, 0
	s_cmp_ge_u32 s52, s48
	s_cselect_b32 s52, -1, 0
	s_cmp_eq_u32 s50, s49
	s_cselect_b32 s50, s52, s51
	s_cmp_lg_u32 s50, 0
	s_cselect_b32 s1, s1, s33
	s_cselect_b32 s0, s0, s47
	s_cbranch_execnz .LBB0_10
.LBB0_9:                                ;   in Loop: Header=BB0_7 Depth=1
	v_cvt_f32_u32_e32 v1, s48
	s_sub_i32 s0, 0, s48
	v_rcp_iflag_f32_e32 v1, v1
	s_nop 0
	v_mul_f32_e32 v1, 0x4f7ffffe, v1
	v_cvt_u32_f32_e32 v1, v1
	s_nop 0
	v_readfirstlane_b32 s1, v1
	s_mul_i32 s0, s0, s1
	s_mul_hi_u32 s0, s1, s0
	s_add_i32 s1, s1, s0
	s_mul_hi_u32 s0, s24, s1
	s_mul_i32 s33, s0, s48
	s_sub_i32 s33, s24, s33
	s_add_i32 s1, s0, 1
	s_sub_i32 s47, s33, s48
	s_cmp_ge_u32 s33, s48
	s_cselect_b32 s0, s1, s0
	s_cselect_b32 s33, s47, s33
	s_add_i32 s1, s0, 1
	s_cmp_ge_u32 s33, s48
	s_cselect_b32 s0, s1, s0
	s_mov_b32 s1, s46
.LBB0_10:                               ;   in Loop: Header=BB0_7 Depth=1
	s_mul_i32 s33, s48, s39
	s_mul_hi_u32 s39, s48, s38
	s_add_i32 s33, s39, s33
	s_mul_i32 s39, s49, s38
	s_add_i32 s39, s33, s39
	s_mul_i32 s33, s0, s49
	s_mul_hi_u32 s47, s0, s48
	s_load_dwordx2 s[50:51], s[42:43], 0x0
	s_add_i32 s33, s47, s33
	s_mul_i32 s47, s1, s48
	s_add_i32 s33, s33, s47
	s_mul_i32 s47, s0, s48
	s_sub_u32 s47, s24, s47
	s_subb_u32 s33, s25, s33
	s_waitcnt lgkmcnt(0)
	s_mul_i32 s24, s50, s33
	s_mul_hi_u32 s25, s50, s47
	s_mul_i32 s38, s48, s38
	s_add_i32 s48, s25, s24
	s_load_dwordx2 s[24:25], s[40:41], 0x0
	s_mul_i32 s49, s51, s47
	s_add_i32 s48, s48, s49
	s_mul_i32 s49, s50, s47
	s_add_u32 s36, s49, s36
	s_addc_u32 s37, s48, s37
	s_waitcnt lgkmcnt(0)
	s_mul_i32 s33, s24, s33
	s_mul_hi_u32 s48, s24, s47
	s_add_i32 s33, s48, s33
	s_mul_i32 s25, s25, s47
	s_add_i32 s33, s33, s25
	s_mul_i32 s24, s24, s47
	s_add_u32 s4, s24, s4
	s_addc_u32 s5, s33, s5
	s_add_u32 s44, s44, 1
	s_addc_u32 s45, s45, 0
	;; [unrolled: 2-line block ×4, first 2 shown]
	s_add_u32 s8, s8, 8
	v_cmp_ge_u64_e32 vcc, s[44:45], v[2:3]
	s_addc_u32 s9, s9, 0
	s_cbranch_vccnz .LBB0_13
; %bb.11:                               ;   in Loop: Header=BB0_7 Depth=1
	s_mov_b64 s[24:25], s[0:1]
	s_branch .LBB0_7
.LBB0_12:                               ;   in Loop: Header=BB0_7 Depth=1
                                        ; implicit-def: $sgpr0_sgpr1
	s_branch .LBB0_9
.LBB0_13:
	v_mov_b64_e32 v[2:3], s[38:39]
	v_cmp_lt_u64_e32 vcc, s[2:3], v[2:3]
	s_mov_b64 s[24:25], 0
	s_cbranch_vccnz .LBB0_15
; %bb.14:
	v_cvt_f32_u32_e32 v1, s38
	s_sub_i32 s0, 0, s38
	v_rcp_iflag_f32_e32 v1, v1
	s_nop 0
	v_mul_f32_e32 v1, 0x4f7ffffe, v1
	v_cvt_u32_f32_e32 v1, v1
	s_nop 0
	v_readfirstlane_b32 s1, v1
	s_mul_i32 s0, s0, s1
	s_mul_hi_u32 s0, s1, s0
	s_add_i32 s1, s1, s0
	s_mul_hi_u32 s0, s2, s1
	s_mul_i32 s3, s0, s38
	s_sub_i32 s2, s2, s3
	s_add_i32 s1, s0, 1
	s_sub_i32 s3, s2, s38
	s_cmp_ge_u32 s2, s38
	s_cselect_b32 s0, s1, s0
	s_cselect_b32 s2, s3, s2
	s_add_i32 s1, s0, 1
	s_cmp_ge_u32 s2, s38
	s_cselect_b32 s24, s1, s0
.LBB0_15:
	s_lshl_b64 s[8:9], s[6:7], 3
	s_add_u32 s2, s30, s8
	s_addc_u32 s3, s31, s9
	s_add_u32 s0, s28, 9
	s_addc_u32 s1, s29, 0
	v_mov_b64_e32 v[2:3], s[34:35]
	v_cmp_le_u64_e32 vcc, s[0:1], v[2:3]
	s_mov_b32 s0, 0x1c71c71d
	v_mul_hi_u32 v62, v0, s0
	v_mul_u32_u24_e32 v1, 9, v62
	v_sub_u32_e32 v56, v0, v1
	v_lshlrev_b32_e32 v1, 4, v62
	v_accvgpr_write_b32 a5, v1
	v_add_u32_e32 v1, 16, v62
	v_mov_b32_e32 v57, 0
	v_accvgpr_write_b32 a3, v1
	v_or_b32_e32 v1, 32, v62
	v_lshl_add_u64 v[2:3], s[28:29], 0, v[56:57]
	v_accvgpr_write_b32 a2, v1
	v_add_u32_e32 v1, 48, v62
	v_cmp_gt_u64_e64 s[0:1], s[34:35], v[2:3]
	v_accvgpr_write_b32 a1, v1
	v_or_b32_e32 v1, 64, v62
	s_or_b64 s[0:1], vcc, s[0:1]
	v_accvgpr_write_b32 a0, v1
	s_and_saveexec_b64 s[6:7], s[0:1]
	s_cbranch_execz .LBB0_17
; %bb.16:
	s_add_u32 s8, s10, s8
	s_addc_u32 s9, s11, s9
	s_load_dwordx2 s[8:9], s[8:9], 0x0
	v_mad_u64_u32 v[2:3], s[10:11], s22, v56, 0
	v_mov_b32_e32 v4, v3
	v_accvgpr_read_b32 v11, a3
	s_waitcnt lgkmcnt(0)
	s_mul_i32 s9, s9, s24
	s_mul_hi_u32 s10, s8, s24
	s_add_i32 s9, s10, s9
	v_mad_u64_u32 v[4:5], s[10:11], s23, v56, v[4:5]
	v_mov_b32_e32 v3, v4
	v_mad_u64_u32 v[4:5], s[10:11], s20, v62, 0
	s_mul_i32 s8, s8, s24
	v_mov_b32_e32 v6, v5
	v_mad_u64_u32 v[6:7], s[10:11], s21, v62, v[6:7]
	s_lshl_b64 s[8:9], s[8:9], 4
	s_add_u32 s10, s12, s8
	s_addc_u32 s11, s13, s9
	s_lshl_b64 s[8:9], s[36:37], 4
	s_add_u32 s8, s10, s8
	s_addc_u32 s9, s11, s9
	v_mov_b32_e32 v5, v6
	v_lshl_add_u64 v[50:51], v[2:3], 4, s[8:9]
	v_accvgpr_read_b32 v13, a2
	v_accvgpr_read_b32 v15, a1
	v_lshl_add_u64 v[34:35], v[4:5], 4, v[50:51]
	v_mad_u64_u32 v[2:3], s[8:9], s20, v11, 0
	v_mad_u64_u32 v[4:5], s[8:9], s20, v13, 0
	;; [unrolled: 1-line block ×3, first 2 shown]
	v_accvgpr_read_b32 v17, a0
	v_add_u32_e32 v1, 0x50, v62
	v_or_b32_e32 v25, 0x60, v62
	v_add_u32_e32 v27, 0x70, v62
	v_mad_u64_u32 v[8:9], s[8:9], s20, v17, 0
	v_or_b32_e32 v29, 0x80, v62
	v_mov_b32_e32 v10, v3
	v_mov_b32_e32 v12, v5
	;; [unrolled: 1-line block ×3, first 2 shown]
	v_mad_u64_u32 v[18:19], s[8:9], s20, v1, 0
	v_mad_u64_u32 v[20:21], s[8:9], s20, v25, 0
	v_mad_u64_u32 v[22:23], s[8:9], s20, v27, 0
	v_mov_b32_e32 v16, v9
	v_mad_u64_u32 v[36:37], s[8:9], s20, v29, 0
	v_mad_u64_u32 v[10:11], s[8:9], s21, v11, v[10:11]
	;; [unrolled: 1-line block ×4, first 2 shown]
	v_mov_b32_e32 v24, v19
	v_mov_b32_e32 v26, v21
	;; [unrolled: 1-line block ×3, first 2 shown]
	v_mad_u64_u32 v[16:17], s[8:9], s21, v17, v[16:17]
	v_mov_b32_e32 v30, v37
	v_mov_b32_e32 v3, v10
	;; [unrolled: 1-line block ×4, first 2 shown]
	v_mad_u64_u32 v[10:11], s[8:9], s21, v1, v[24:25]
	v_mad_u64_u32 v[12:13], s[8:9], s21, v25, v[26:27]
	;; [unrolled: 1-line block ×3, first 2 shown]
	v_mov_b32_e32 v9, v16
	v_mad_u64_u32 v[38:39], s[8:9], s21, v29, v[30:31]
	v_mov_b32_e32 v19, v10
	v_mov_b32_e32 v21, v12
	;; [unrolled: 1-line block ×3, first 2 shown]
	v_add_u32_e32 v1, 0x90, v62
	v_lshl_add_u64 v[40:41], v[2:3], 4, v[50:51]
	v_lshl_add_u64 v[42:43], v[4:5], 4, v[50:51]
	;; [unrolled: 1-line block ×7, first 2 shown]
	global_load_dwordx4 v[2:5], v[34:35], off
	global_load_dwordx4 v[6:9], v[40:41], off
	;; [unrolled: 1-line block ×8, first 2 shown]
	v_mov_b32_e32 v37, v38
	v_mad_u64_u32 v[34:35], s[8:9], s20, v1, 0
	v_lshl_add_u64 v[42:43], v[36:37], 4, v[50:51]
	v_mov_b32_e32 v36, v35
	v_mad_u64_u32 v[36:37], s[8:9], s21, v1, v[36:37]
	v_mov_b32_e32 v35, v36
	v_or_b32_e32 v1, 0xa0, v62
	v_lshl_add_u64 v[44:45], v[34:35], 4, v[50:51]
	global_load_dwordx4 v[34:37], v[42:43], off
	global_load_dwordx4 v[38:41], v[44:45], off
	v_mad_u64_u32 v[42:43], s[8:9], s20, v1, 0
	v_mov_b32_e32 v44, v43
	v_mad_u64_u32 v[44:45], s[8:9], s21, v1, v[44:45]
	v_mov_b32_e32 v43, v44
	v_add_u32_e32 v1, 0xb0, v62
	v_lshl_add_u64 v[52:53], v[42:43], 4, v[50:51]
	v_mad_u64_u32 v[42:43], s[8:9], s20, v1, 0
	v_mov_b32_e32 v44, v43
	v_mad_u64_u32 v[44:45], s[8:9], s21, v1, v[44:45]
	v_mov_b32_e32 v43, v44
	v_lshl_add_u64 v[54:55], v[42:43], 4, v[50:51]
	global_load_dwordx4 v[42:45], v[52:53], off
	global_load_dwordx4 v[46:49], v[54:55], off
	v_or_b32_e32 v1, 0xc0, v62
	v_mad_u64_u32 v[52:53], s[8:9], s20, v1, 0
	v_mov_b32_e32 v54, v53
	v_mad_u64_u32 v[54:55], s[8:9], s21, v1, v[54:55]
	v_mov_b32_e32 v53, v54
	v_lshl_add_u64 v[50:51], v[52:53], 4, v[50:51]
	global_load_dwordx4 v[50:53], v[50:51], off
	s_movk_i32 s8, 0xd00
	v_mul_lo_u32 v1, v56, s8
	v_accvgpr_read_b32 v54, a5
	v_add3_u32 v1, 0, v1, v54
	s_waitcnt vmcnt(12)
	ds_write_b128 v1, v[2:5]
	s_waitcnt vmcnt(11)
	ds_write_b128 v1, v[6:9] offset:256
	s_waitcnt vmcnt(10)
	ds_write_b128 v1, v[10:13] offset:512
	;; [unrolled: 2-line block ×12, first 2 shown]
.LBB0_17:
	s_or_b64 exec, exec, s[6:7]
	s_add_u32 s6, 0, 0x71c4fc00
	s_addc_u32 s7, 0, 0x7c
	s_add_i32 s7, s7, 0x1c71c6a0
	s_mul_hi_u32 s11, s6, -9
	s_sub_i32 s11, s11, s6
	s_mul_i32 s12, s7, -9
	s_mul_i32 s8, s6, -9
	s_add_i32 s11, s11, s12
	s_mul_hi_u32 s9, s7, s8
	s_mul_i32 s10, s7, s8
	s_mul_i32 s13, s6, s11
	s_mul_hi_u32 s8, s6, s8
	s_mul_hi_u32 s12, s6, s11
	s_add_u32 s8, s8, s13
	s_addc_u32 s12, 0, s12
	s_add_u32 s8, s8, s10
	s_mul_hi_u32 s13, s7, s11
	s_addc_u32 s8, s12, s9
	s_addc_u32 s9, s13, 0
	s_mul_i32 s10, s7, s11
	s_add_u32 s8, s8, s10
	v_mov_b32_e32 v1, s8
	s_addc_u32 s9, 0, s9
	v_add_co_u32_e32 v1, vcc, s6, v1
	v_lshrrev_b32_e32 v2, 4, v0
	v_mov_b32_e32 v3, v57
	s_cmp_lg_u64 vcc, 0
	v_lshl_add_u64 v[44:45], s[28:29], 0, v[2:3]
	s_addc_u32 s8, s7, s9
	v_mad_u64_u32 v[2:3], s[6:7], v44, s8, 0
	v_mul_hi_u32 v4, v44, v1
	v_mov_b32_e32 v5, v57
	v_lshl_add_u64 v[2:3], v[4:5], 0, v[2:3]
	v_mad_u64_u32 v[6:7], s[6:7], v45, v1, 0
	v_add_co_u32_e32 v1, vcc, v2, v6
	v_mad_u64_u32 v[4:5], s[6:7], v45, s8, 0
	s_nop 0
	v_addc_co_u32_e32 v2, vcc, v3, v7, vcc
	v_mov_b32_e32 v3, v57
	s_nop 0
	v_addc_co_u32_e32 v5, vcc, 0, v5, vcc
	v_lshl_add_u64 v[2:3], v[2:3], 0, v[4:5]
	v_mad_u64_u32 v[4:5], s[6:7], v2, 9, 0
	v_mov_b32_e32 v2, v5
	v_mad_u64_u32 v[2:3], s[6:7], v3, 9, v[2:3]
	v_sub_co_u32_e32 v1, vcc, v44, v4
	s_load_dwordx2 s[2:3], s[2:3], 0x0
	s_nop 0
	v_subb_co_u32_e32 v2, vcc, v45, v2, vcc
	v_subrev_co_u32_e32 v3, vcc, 9, v1
	v_and_b32_e32 v45, 15, v0
	s_nop 0
	v_subbrev_co_u32_e32 v4, vcc, 0, v2, vcc
	v_cmp_lt_u32_e32 vcc, 8, v3
	s_waitcnt lgkmcnt(0)
	s_barrier
	v_cndmask_b32_e64 v5, 0, -1, vcc
	v_cmp_eq_u32_e32 vcc, 0, v4
	s_mov_b32 s42, 0x4267c47c
	s_nop 0
	v_cndmask_b32_e32 v4, -1, v5, vcc
	v_add_u32_e32 v5, -9, v3
	v_cmp_ne_u32_e32 vcc, 0, v4
	s_mov_b32 s36, 0x42a4c3d2
	s_mov_b32 s22, 0x66966769
	v_cndmask_b32_e32 v3, v3, v5, vcc
	v_cmp_lt_u32_e32 vcc, 8, v1
	s_mov_b32 s12, 0x2ef20147
	s_mov_b32 s28, 0x24c2f84
	v_cndmask_b32_e64 v4, 0, -1, vcc
	v_cmp_eq_u32_e32 vcc, 0, v2
	s_mov_b32 s50, 0x4bc48dbf
	s_mov_b32 s43, 0xbfddbe06
	v_cndmask_b32_e32 v2, -1, v4, vcc
	v_cmp_ne_u32_e32 vcc, 0, v2
	s_mov_b32 s10, 0xe00740e9
	s_mov_b32 s37, 0xbfea55e2
	v_cndmask_b32_e32 v1, v1, v3, vcc
	v_mul_u32_u24_e32 v1, 0xd0, v1
	v_lshlrev_b32_e32 v0, 4, v1
	v_add_u32_e32 v68, 0, v0
	v_lshlrev_b32_e32 v1, 4, v45
	v_add_u32_e32 v2, v68, v1
	v_add3_u32 v63, 0, v1, v0
	ds_read_b128 v[4:7], v2
	ds_read_b128 v[46:49], v63 offset:256
	ds_read_b128 v[36:39], v63 offset:512
	;; [unrolled: 1-line block ×11, first 2 shown]
	s_waitcnt lgkmcnt(10)
	v_add_f64 v[0:1], v[4:5], v[46:47]
	v_accvgpr_write_b32 a6, v2
	v_add_f64 v[2:3], v[6:7], v[48:49]
	s_waitcnt lgkmcnt(9)
	v_add_f64 v[0:1], v[0:1], v[36:37]
	v_add_f64 v[2:3], v[2:3], v[38:39]
	s_waitcnt lgkmcnt(8)
	v_add_f64 v[0:1], v[0:1], v[32:33]
	;; [unrolled: 3-line block ×5, first 2 shown]
	ds_read_b128 v[64:67], v63 offset:3072
	v_add_f64 v[2:3], v[2:3], v[10:11]
	s_waitcnt lgkmcnt(5)
	v_add_f64 v[0:1], v[0:1], v[12:13]
	v_add_f64 v[2:3], v[2:3], v[14:15]
	s_waitcnt lgkmcnt(4)
	v_add_f64 v[0:1], v[0:1], v[20:21]
	;; [unrolled: 3-line block ×5, first 2 shown]
	s_waitcnt lgkmcnt(0)
	v_add_f64 v[60:61], v[48:49], -v[66:67]
	s_mov_b32 s8, 0x1ea71119
	s_mov_b32 s23, 0xbfefc445
	;; [unrolled: 1-line block ×9, first 2 shown]
	v_accvgpr_write_b32 a4, v56
	v_add_f64 v[2:3], v[2:3], v[52:53]
	v_add_f64 v[0:1], v[0:1], v[64:65]
	;; [unrolled: 1-line block ×4, first 2 shown]
	v_add_f64 v[54:55], v[46:47], -v[64:65]
	v_add_f64 v[46:47], v[36:37], v[50:51]
	v_add_f64 v[36:37], v[36:37], -v[50:51]
	v_add_f64 v[50:51], v[32:33], v[40:41]
	v_add_f64 v[32:33], v[32:33], -v[40:41]
	v_add_f64 v[40:41], v[24:25], v[28:29]
	v_add_f64 v[24:25], v[24:25], -v[28:29]
	v_add_f64 v[28:29], v[16:17], v[20:21]
	v_add_f64 v[16:17], v[16:17], -v[20:21]
	v_add_f64 v[20:21], v[8:9], v[12:13]
	v_add_f64 v[8:9], v[8:9], -v[12:13]
	s_mov_b32 s11, 0x3fec55a7
	v_mul_f64 v[12:13], v[60:61], s[42:43]
	s_mov_b32 s9, 0x3fe22d96
	v_mul_f64 v[64:65], v[60:61], s[36:37]
	;; [unrolled: 2-line block ×5, first 2 shown]
	v_mul_f64 v[60:61], v[60:61], s[50:51]
	s_mov_b32 s49, 0xbfef11f4
	v_add_f64 v[2:3], v[2:3], v[66:67]
	v_add_f64 v[48:49], v[38:39], v[52:53]
	v_add_f64 v[38:39], v[38:39], -v[52:53]
	v_add_f64 v[52:53], v[34:35], v[42:43]
	v_add_f64 v[34:35], v[34:35], -v[42:43]
	;; [unrolled: 2-line block ×5, first 2 shown]
	v_fma_f64 v[14:15], s[10:11], v[58:59], v[12:13]
	v_fma_f64 v[12:13], v[58:59], s[10:11], -v[12:13]
	v_fma_f64 v[66:67], s[8:9], v[58:59], v[64:65]
	v_fma_f64 v[64:65], v[58:59], s[8:9], -v[64:65]
	;; [unrolled: 2-line block ×6, first 2 shown]
	s_mov_b32 s41, 0x3fddbe06
	s_mov_b32 s40, s42
	v_mul_f64 v[58:59], v[56:57], s[10:11]
	s_mov_b32 s39, 0x3fea55e2
	s_mov_b32 s38, s36
	v_mul_f64 v[86:87], v[56:57], s[8:9]
	;; [unrolled: 3-line block ×5, first 2 shown]
	v_mul_f64 v[102:103], v[56:57], s[48:49]
	s_mov_b32 s53, 0x3fcea1e5
	s_mov_b32 s52, s50
	v_fma_f64 v[84:85], s[40:41], v[54:55], v[58:59]
	v_fmac_f64_e32 v[58:59], s[42:43], v[54:55]
	v_fma_f64 v[88:89], s[38:39], v[54:55], v[86:87]
	v_fmac_f64_e32 v[86:87], s[36:37], v[54:55]
	v_fma_f64 v[92:93], s[30:31], v[54:55], v[90:91]
	v_fmac_f64_e32 v[90:91], s[22:23], v[54:55]
	v_fma_f64 v[96:97], s[44:45], v[54:55], v[94:95]
	v_fmac_f64_e32 v[94:95], s[12:13], v[54:55]
	v_fma_f64 v[100:101], s[46:47], v[54:55], v[98:99]
	v_fmac_f64_e32 v[98:99], s[28:29], v[54:55]
	v_fma_f64 v[104:105], s[52:53], v[54:55], v[102:103]
	v_fmac_f64_e32 v[102:103], s[50:51], v[54:55]
	v_add_f64 v[106:107], v[4:5], v[14:15]
	v_add_f64 v[84:85], v[6:7], v[84:85]
	;; [unrolled: 1-line block ×24, first 2 shown]
	v_mul_f64 v[6:7], v[38:39], s[36:37]
	v_mul_f64 v[78:79], v[48:49], s[8:9]
	v_fma_f64 v[60:61], s[8:9], v[46:47], v[6:7]
	v_fma_f64 v[64:65], s[38:39], v[36:37], v[78:79]
	v_mul_f64 v[82:83], v[34:35], s[22:23]
	v_add_f64 v[60:61], v[60:61], v[106:107]
	v_add_f64 v[64:65], v[64:65], v[84:85]
	v_fma_f64 v[66:67], s[6:7], v[50:51], v[82:83]
	v_mul_f64 v[84:85], v[52:53], s[6:7]
	v_add_f64 v[60:61], v[66:67], v[60:61]
	v_fma_f64 v[66:67], s[30:31], v[32:33], v[84:85]
	v_mul_f64 v[92:93], v[26:27], s[12:13]
	;; [unrolled: 3-line block ×5, first 2 shown]
	v_fma_f64 v[6:7], v[46:47], s[8:9], -v[6:7]
	v_fmac_f64_e32 v[78:79], s[36:37], v[36:37]
	v_add_f64 v[60:61], v[66:67], v[60:61]
	v_fma_f64 v[66:67], s[46:47], v[16:17], v[102:103]
	v_mul_f64 v[104:105], v[10:11], s[50:51]
	v_add_f64 v[6:7], v[6:7], v[108:109]
	v_add_f64 v[78:79], v[78:79], v[110:111]
	v_fma_f64 v[82:83], v[50:51], s[6:7], -v[82:83]
	v_fmac_f64_e32 v[84:85], s[22:23], v[32:33]
	v_add_f64 v[66:67], v[66:67], v[64:65]
	v_fma_f64 v[64:65], s[48:49], v[20:21], v[104:105]
	v_add_f64 v[6:7], v[82:83], v[6:7]
	v_add_f64 v[78:79], v[84:85], v[78:79]
	v_fma_f64 v[82:83], v[40:41], s[20:21], -v[92:93]
	v_fmac_f64_e32 v[94:95], s[12:13], v[24:25]
	v_add_f64 v[64:65], v[64:65], v[60:61]
	v_mul_f64 v[60:61], v[22:23], s[48:49]
	v_add_f64 v[6:7], v[82:83], v[6:7]
	v_add_f64 v[78:79], v[94:95], v[78:79]
	v_fma_f64 v[82:83], v[28:29], s[34:35], -v[98:99]
	v_fmac_f64_e32 v[102:103], s[28:29], v[16:17]
	v_fma_f64 v[106:107], s[52:53], v[8:9], v[60:61]
	v_add_f64 v[6:7], v[82:83], v[6:7]
	v_add_f64 v[78:79], v[102:103], v[78:79]
	v_fma_f64 v[82:83], v[20:21], s[48:49], -v[104:105]
	v_fmac_f64_e32 v[60:61], s[50:51], v[8:9]
	v_add_f64 v[92:93], v[82:83], v[6:7]
	v_add_f64 v[94:95], v[60:61], v[78:79]
	v_mul_f64 v[6:7], v[38:39], s[12:13]
	v_mul_f64 v[78:79], v[48:49], s[20:21]
	v_fma_f64 v[60:61], s[20:21], v[46:47], v[6:7]
	v_fma_f64 v[82:83], s[44:45], v[36:37], v[78:79]
	v_mul_f64 v[84:85], v[34:35], s[50:51]
	v_add_f64 v[60:61], v[60:61], v[112:113]
	v_add_f64 v[82:83], v[82:83], v[88:89]
	v_fma_f64 v[88:89], s[48:49], v[50:51], v[84:85]
	v_add_f64 v[60:61], v[88:89], v[60:61]
	v_mul_f64 v[88:89], v[52:53], s[48:49]
	v_fma_f64 v[98:99], s[52:53], v[32:33], v[88:89]
	v_add_f64 v[82:83], v[98:99], v[82:83]
	v_mul_f64 v[98:99], v[26:27], s[46:47]
	;; [unrolled: 3-line block ×4, first 2 shown]
	v_add_f64 v[66:67], v[106:107], v[66:67]
	v_fma_f64 v[106:107], s[6:7], v[28:29], v[104:105]
	v_add_f64 v[60:61], v[106:107], v[60:61]
	v_mul_f64 v[106:107], v[30:31], s[6:7]
	v_fma_f64 v[108:109], s[22:23], v[16:17], v[106:107]
	v_mul_f64 v[112:113], v[10:11], s[40:41]
	v_add_f64 v[82:83], v[108:109], v[82:83]
	v_fma_f64 v[108:109], s[10:11], v[20:21], v[112:113]
	v_add_f64 v[108:109], v[108:109], v[60:61]
	v_mul_f64 v[60:61], v[22:23], s[10:11]
	v_fma_f64 v[110:111], s[42:43], v[8:9], v[60:61]
	v_fma_f64 v[6:7], v[46:47], s[20:21], -v[6:7]
	v_add_f64 v[110:111], v[110:111], v[82:83]
	v_add_f64 v[6:7], v[6:7], v[114:115]
	v_fmac_f64_e32 v[78:79], s[12:13], v[36:37]
	v_fma_f64 v[82:83], v[50:51], s[48:49], -v[84:85]
	v_add_f64 v[78:79], v[78:79], v[86:87]
	v_add_f64 v[6:7], v[82:83], v[6:7]
	v_fmac_f64_e32 v[88:89], s[50:51], v[32:33]
	;; [unrolled: 4-line block ×5, first 2 shown]
	v_mul_f64 v[6:7], v[38:39], s[50:51]
	v_add_f64 v[142:143], v[60:61], v[78:79]
	v_fma_f64 v[60:61], s[48:49], v[46:47], v[6:7]
	v_mul_f64 v[82:83], v[34:35], s[44:45]
	v_add_f64 v[60:61], v[60:61], v[72:73]
	v_mul_f64 v[72:73], v[48:49], s[48:49]
	v_fma_f64 v[84:85], s[20:21], v[50:51], v[82:83]
	v_fma_f64 v[78:79], s[52:53], v[36:37], v[72:73]
	v_add_f64 v[60:61], v[84:85], v[60:61]
	v_mul_f64 v[84:85], v[52:53], s[20:21]
	v_add_f64 v[78:79], v[78:79], v[116:117]
	v_fma_f64 v[86:87], s[12:13], v[32:33], v[84:85]
	v_add_f64 v[78:79], v[86:87], v[78:79]
	v_mul_f64 v[86:87], v[26:27], s[40:41]
	v_fma_f64 v[88:89], s[10:11], v[40:41], v[86:87]
	v_add_f64 v[60:61], v[88:89], v[60:61]
	v_mul_f64 v[88:89], v[42:43], s[10:11]
	;; [unrolled: 3-line block ×4, first 2 shown]
	v_fma_f64 v[6:7], v[46:47], s[48:49], -v[6:7]
	v_fmac_f64_e32 v[72:73], s[50:51], v[36:37]
	v_fma_f64 v[104:105], s[38:39], v[16:17], v[102:103]
	v_add_f64 v[6:7], v[6:7], v[70:71]
	v_add_f64 v[70:71], v[72:73], v[90:91]
	v_fma_f64 v[72:73], v[50:51], s[20:21], -v[82:83]
	v_add_f64 v[78:79], v[104:105], v[78:79]
	v_mul_f64 v[104:105], v[10:11], s[28:29]
	v_add_f64 v[6:7], v[72:73], v[6:7]
	v_fmac_f64_e32 v[84:85], s[44:45], v[32:33]
	v_fma_f64 v[72:73], v[40:41], s[10:11], -v[86:87]
	v_fma_f64 v[106:107], s[34:35], v[20:21], v[104:105]
	v_add_f64 v[70:71], v[84:85], v[70:71]
	v_add_f64 v[6:7], v[72:73], v[6:7]
	v_fmac_f64_e32 v[88:89], s[40:41], v[24:25]
	v_fma_f64 v[72:73], v[28:29], s[8:9], -v[98:99]
	v_add_f64 v[120:121], v[106:107], v[60:61]
	v_mul_f64 v[60:61], v[22:23], s[34:35]
	v_add_f64 v[70:71], v[88:89], v[70:71]
	v_add_f64 v[6:7], v[72:73], v[6:7]
	v_fmac_f64_e32 v[102:103], s[36:37], v[16:17]
	v_fma_f64 v[72:73], v[20:21], s[34:35], -v[104:105]
	v_fma_f64 v[106:107], s[46:47], v[8:9], v[60:61]
	v_add_f64 v[70:71], v[102:103], v[70:71]
	v_add_f64 v[156:157], v[72:73], v[6:7]
	v_fmac_f64_e32 v[60:61], s[28:29], v[8:9]
	v_mul_f64 v[6:7], v[38:39], s[46:47]
	v_add_f64 v[158:159], v[60:61], v[70:71]
	v_fma_f64 v[60:61], s[34:35], v[46:47], v[6:7]
	v_add_f64 v[60:61], v[60:61], v[76:77]
	v_mul_f64 v[76:77], v[34:35], s[40:41]
	v_add_f64 v[122:123], v[106:107], v[78:79]
	v_mul_f64 v[70:71], v[48:49], s[34:35]
	v_fma_f64 v[78:79], s[10:11], v[50:51], v[76:77]
	v_fma_f64 v[72:73], s[28:29], v[36:37], v[70:71]
	v_add_f64 v[60:61], v[78:79], v[60:61]
	v_mul_f64 v[78:79], v[52:53], s[10:11]
	v_add_f64 v[72:73], v[72:73], v[96:97]
	v_fma_f64 v[82:83], s[42:43], v[32:33], v[78:79]
	v_add_f64 v[72:73], v[82:83], v[72:73]
	v_mul_f64 v[82:83], v[26:27], s[22:23]
	v_fma_f64 v[84:85], s[6:7], v[40:41], v[82:83]
	v_add_f64 v[60:61], v[84:85], v[60:61]
	v_mul_f64 v[84:85], v[42:43], s[6:7]
	v_fma_f64 v[86:87], s[30:31], v[24:25], v[84:85]
	v_add_f64 v[72:73], v[86:87], v[72:73]
	v_mul_f64 v[86:87], v[18:19], s[52:53]
	v_fma_f64 v[88:89], s[48:49], v[28:29], v[86:87]
	v_add_f64 v[60:61], v[88:89], v[60:61]
	v_mul_f64 v[88:89], v[30:31], s[48:49]
	v_fma_f64 v[90:91], s[50:51], v[16:17], v[88:89]
	v_add_f64 v[72:73], v[90:91], v[72:73]
	v_mul_f64 v[90:91], v[10:11], s[38:39]
	v_fma_f64 v[96:97], s[8:9], v[20:21], v[90:91]
	v_add_f64 v[112:113], v[96:97], v[60:61]
	v_mul_f64 v[60:61], v[22:23], s[8:9]
	v_fma_f64 v[96:97], s[36:37], v[8:9], v[60:61]
	v_fma_f64 v[6:7], v[46:47], s[34:35], -v[6:7]
	v_add_f64 v[114:115], v[96:97], v[72:73]
	v_add_f64 v[6:7], v[6:7], v[74:75]
	v_fmac_f64_e32 v[70:71], s[46:47], v[36:37]
	v_fma_f64 v[72:73], v[50:51], s[10:11], -v[76:77]
	v_add_f64 v[70:71], v[70:71], v[118:119]
	v_add_f64 v[6:7], v[72:73], v[6:7]
	v_fmac_f64_e32 v[78:79], s[40:41], v[32:33]
	v_fma_f64 v[72:73], v[40:41], s[6:7], -v[82:83]
	v_add_f64 v[70:71], v[78:79], v[70:71]
	v_add_f64 v[6:7], v[72:73], v[6:7]
	v_fmac_f64_e32 v[84:85], s[22:23], v[24:25]
	v_fma_f64 v[72:73], v[28:29], s[48:49], -v[86:87]
	v_add_f64 v[70:71], v[84:85], v[70:71]
	v_add_f64 v[6:7], v[72:73], v[6:7]
	v_fmac_f64_e32 v[88:89], s[52:53], v[16:17]
	v_fma_f64 v[72:73], v[20:21], s[8:9], -v[90:91]
	v_add_f64 v[70:71], v[88:89], v[70:71]
	v_add_f64 v[172:173], v[72:73], v[6:7]
	v_fmac_f64_e32 v[60:61], s[38:39], v[8:9]
	v_mul_f64 v[6:7], v[38:39], s[30:31]
	v_add_f64 v[174:175], v[60:61], v[70:71]
	v_fma_f64 v[60:61], s[6:7], v[46:47], v[6:7]
	v_mul_f64 v[74:75], v[34:35], s[36:37]
	v_add_f64 v[60:61], v[60:61], v[80:81]
	v_mul_f64 v[70:71], v[48:49], s[6:7]
	v_fma_f64 v[76:77], s[8:9], v[50:51], v[74:75]
	v_fma_f64 v[72:73], s[22:23], v[36:37], v[70:71]
	v_add_f64 v[60:61], v[76:77], v[60:61]
	v_mul_f64 v[76:77], v[52:53], s[8:9]
	v_add_f64 v[72:73], v[72:73], v[100:101]
	v_fma_f64 v[78:79], s[38:39], v[32:33], v[76:77]
	v_add_f64 v[72:73], v[78:79], v[72:73]
	v_mul_f64 v[78:79], v[26:27], s[52:53]
	v_fma_f64 v[80:81], s[48:49], v[40:41], v[78:79]
	v_add_f64 v[60:61], v[80:81], v[60:61]
	v_mul_f64 v[80:81], v[42:43], s[48:49]
	;; [unrolled: 3-line block ×3, first 2 shown]
	v_fma_f64 v[84:85], s[10:11], v[28:29], v[82:83]
	v_fma_f64 v[6:7], v[46:47], s[6:7], -v[6:7]
	v_add_f64 v[60:61], v[84:85], v[60:61]
	v_mul_f64 v[84:85], v[30:31], s[10:11]
	v_add_f64 v[6:7], v[6:7], v[58:59]
	v_fma_f64 v[58:59], v[50:51], s[8:9], -v[74:75]
	v_fma_f64 v[86:87], s[42:43], v[16:17], v[84:85]
	v_add_f64 v[6:7], v[58:59], v[6:7]
	v_fma_f64 v[58:59], v[40:41], s[48:49], -v[78:79]
	v_add_f64 v[72:73], v[86:87], v[72:73]
	v_mul_f64 v[86:87], v[10:11], s[12:13]
	v_add_f64 v[6:7], v[58:59], v[6:7]
	v_fma_f64 v[58:59], v[28:29], s[10:11], -v[82:83]
	v_add_f64 v[6:7], v[58:59], v[6:7]
	v_fma_f64 v[58:59], v[20:21], s[20:21], -v[86:87]
	v_add_f64 v[116:117], v[58:59], v[6:7]
	v_mul_f64 v[6:7], v[38:39], s[40:41]
	v_fma_f64 v[38:39], s[10:11], v[46:47], v[6:7]
	v_mul_f64 v[48:49], v[48:49], s[10:11]
	v_add_f64 v[38:39], v[38:39], v[54:55]
	v_fma_f64 v[54:55], s[42:43], v[36:37], v[48:49]
	v_mul_f64 v[34:35], v[34:35], s[28:29]
	v_add_f64 v[14:15], v[54:55], v[14:15]
	;; [unrolled: 3-line block ×4, first 2 shown]
	v_fma_f64 v[54:55], s[8:9], v[40:41], v[26:27]
	v_mul_f64 v[42:43], v[42:43], s[8:9]
	v_fmac_f64_e32 v[70:71], s[30:31], v[36:37]
	v_add_f64 v[38:39], v[54:55], v[38:39]
	v_fma_f64 v[54:55], s[36:37], v[24:25], v[42:43]
	v_mul_f64 v[18:19], v[18:19], s[12:13]
	v_fma_f64 v[6:7], v[46:47], s[10:11], -v[6:7]
	v_fmac_f64_e32 v[48:49], s[40:41], v[36:37]
	v_add_f64 v[56:57], v[70:71], v[56:57]
	v_fmac_f64_e32 v[76:77], s[36:37], v[32:33]
	v_add_f64 v[14:15], v[54:55], v[14:15]
	v_fma_f64 v[54:55], s[20:21], v[28:29], v[18:19]
	v_mul_f64 v[30:31], v[30:31], s[20:21]
	v_add_f64 v[6:7], v[6:7], v[12:13]
	v_add_f64 v[4:5], v[48:49], v[4:5]
	v_fma_f64 v[12:13], v[50:51], s[34:35], -v[34:35]
	v_fmac_f64_e32 v[52:53], s[28:29], v[32:33]
	v_fma_f64 v[88:89], s[20:21], v[20:21], v[86:87]
	v_add_f64 v[56:57], v[76:77], v[56:57]
	v_fmac_f64_e32 v[80:81], s[52:53], v[24:25]
	v_add_f64 v[38:39], v[54:55], v[38:39]
	v_fma_f64 v[54:55], s[44:45], v[16:17], v[30:31]
	v_mul_f64 v[10:11], v[10:11], s[30:31]
	v_add_f64 v[6:7], v[12:13], v[6:7]
	v_add_f64 v[4:5], v[52:53], v[4:5]
	v_fma_f64 v[12:13], v[40:41], s[8:9], -v[26:27]
	v_fmac_f64_e32 v[42:43], s[38:39], v[24:25]
	v_add_f64 v[168:169], v[88:89], v[60:61]
	v_mul_f64 v[60:61], v[22:23], s[20:21]
	v_add_f64 v[56:57], v[80:81], v[56:57]
	v_fmac_f64_e32 v[84:85], s[40:41], v[16:17]
	v_add_f64 v[14:15], v[54:55], v[14:15]
	v_fma_f64 v[54:55], s[6:7], v[20:21], v[10:11]
	v_mul_f64 v[22:23], v[22:23], s[6:7]
	v_add_f64 v[6:7], v[12:13], v[6:7]
	v_add_f64 v[4:5], v[42:43], v[4:5]
	v_fma_f64 v[12:13], v[28:29], s[20:21], -v[18:19]
	v_fmac_f64_e32 v[30:31], s[12:13], v[16:17]
	v_fma_f64 v[88:89], s[44:45], v[8:9], v[60:61]
	v_add_f64 v[56:57], v[84:85], v[56:57]
	v_fmac_f64_e32 v[60:61], s[12:13], v[8:9]
	v_add_f64 v[188:189], v[54:55], v[38:39]
	v_fma_f64 v[38:39], s[22:23], v[8:9], v[22:23]
	v_add_f64 v[6:7], v[12:13], v[6:7]
	v_add_f64 v[4:5], v[30:31], v[4:5]
	v_fma_f64 v[10:11], v[20:21], s[6:7], -v[10:11]
	v_fmac_f64_e32 v[22:23], s[30:31], v[8:9]
	s_movk_i32 s6, 0xd0
	v_add_f64 v[170:171], v[88:89], v[72:73]
	v_add_f64 v[118:119], v[60:61], v[56:57]
	;; [unrolled: 1-line block ×5, first 2 shown]
	v_mad_u32_u24 v4, v45, s6, v68
	v_cmp_gt_u32_e32 vcc, 13, v45
	s_barrier
	ds_write_b128 v4, v[0:3]
	ds_write_b128 v4, v[64:67] offset:16
	ds_write_b128 v4, v[108:111] offset:32
	ds_write_b128 v4, v[120:123] offset:48
	ds_write_b128 v4, v[112:115] offset:64
	ds_write_b128 v4, v[168:171] offset:80
	ds_write_b128 v4, v[188:191] offset:96
	ds_write_b128 v4, v[192:195] offset:112
	ds_write_b128 v4, v[116:119] offset:128
	ds_write_b128 v4, v[172:175] offset:144
	ds_write_b128 v4, v[156:159] offset:160
	ds_write_b128 v4, v[140:143] offset:176
	ds_write_b128 v4, v[92:95] offset:192
	s_waitcnt lgkmcnt(0)
	s_barrier
	s_waitcnt lgkmcnt(0)
                                        ; implicit-def: $vgpr206_vgpr207
                                        ; implicit-def: $vgpr218_vgpr219
                                        ; implicit-def: $vgpr230_vgpr231
	s_and_saveexec_b64 s[6:7], vcc
	s_cbranch_execz .LBB0_19
; %bb.18:
	v_accvgpr_read_b32 v0, a6
	ds_read_b128 v[0:3], v0
	ds_read_b128 v[64:67], v63 offset:208
	ds_read_b128 v[108:111], v63 offset:416
	;; [unrolled: 1-line block ×15, first 2 shown]
.LBB0_19:
	s_or_b64 exec, exec, s[6:7]
	v_add_u32_e32 v4, -13, v45
	v_cndmask_b32_e32 v60, v4, v45, vcc
	v_mul_lo_u32 v4, v60, v44
	v_lshrrev_b32_e32 v6, 2, v4
	v_and_b32_e32 v5, 63, v4
	s_add_i32 s6, 0, 0x7500
	v_and_b32_e32 v6, 0x3f0, v6
	v_lshl_add_u32 v5, v5, 4, 0
	v_add_u32_e32 v6, s6, v6
	ds_read_b128 a[8:11], v5 offset:29952
	ds_read_b128 a[12:15], v6 offset:1024
	v_mul_lo_u32 v6, v44, 13
	v_lshrrev_b32_e32 v5, 8, v4
	v_add_u32_e32 v4, v4, v6
	v_and_b32_e32 v5, 0x3f0, v5
	v_and_b32_e32 v7, 63, v4
	v_add_u32_e32 v5, s6, v5
	v_lshl_add_u32 v7, v7, 4, 0
	ds_read_b128 a[16:19], v5 offset:2048
	ds_read_b128 v[16:19], v7 offset:29952
	v_lshrrev_b32_e32 v5, 2, v4
	v_lshrrev_b32_e32 v7, 8, v4
	v_and_b32_e32 v5, 0x3f0, v5
	v_and_b32_e32 v7, 0x3f0, v7
	v_add_u32_e32 v5, s6, v5
	v_add_u32_e32 v7, s6, v7
	v_add_u32_e32 v4, v4, v6
	ds_read_b128 v[24:27], v5 offset:1024
	ds_read_b128 v[20:23], v7 offset:2048
	v_and_b32_e32 v5, 63, v4
	v_lshrrev_b32_e32 v7, 2, v4
	v_lshl_add_u32 v5, v5, 4, 0
	v_and_b32_e32 v7, 0x3f0, v7
	v_add_u32_e32 v7, s6, v7
	ds_read_b128 v[28:31], v5 offset:29952
	ds_read_b128 v[32:35], v7 offset:1024
	v_lshrrev_b32_e32 v5, 8, v4
	v_add_u32_e32 v4, v4, v6
	v_and_b32_e32 v5, 0x3f0, v5
	v_and_b32_e32 v7, 63, v4
	v_add_u32_e32 v5, s6, v5
	v_lshl_add_u32 v7, v7, 4, 0
	ds_read_b128 v[36:39], v5 offset:2048
	ds_read_b128 v[40:43], v7 offset:29952
	v_lshrrev_b32_e32 v5, 2, v4
	v_lshrrev_b32_e32 v7, 8, v4
	v_and_b32_e32 v5, 0x3f0, v5
	v_and_b32_e32 v7, 0x3f0, v7
	v_add_u32_e32 v5, s6, v5
	v_add_u32_e32 v7, s6, v7
	v_add_u32_e32 v4, v4, v6
	ds_read_b128 v[48:51], v5 offset:1024
	ds_read_b128 v[44:47], v7 offset:2048
	v_and_b32_e32 v5, 63, v4
	v_lshrrev_b32_e32 v7, 2, v4
	v_lshl_add_u32 v5, v5, 4, 0
	v_and_b32_e32 v7, 0x3f0, v7
	v_add_u32_e32 v7, s6, v7
	ds_read_b128 v[52:55], v5 offset:29952
	ds_read_b128 v[56:59], v7 offset:1024
	v_lshrrev_b32_e32 v5, 8, v4
	v_add_u32_e32 v4, v4, v6
	v_and_b32_e32 v5, 0x3f0, v5
	v_and_b32_e32 v7, 63, v4
	v_add_u32_e32 v5, s6, v5
	v_lshl_add_u32 v7, v7, 4, 0
	ds_read_b128 v[8:11], v5 offset:2048
	ds_read_b128 v[68:71], v7 offset:29952
	v_lshrrev_b32_e32 v5, 2, v4
	v_lshrrev_b32_e32 v7, 8, v4
	v_and_b32_e32 v5, 0x3f0, v5
	v_and_b32_e32 v7, 0x3f0, v7
	v_add_u32_e32 v5, s6, v5
	v_add_u32_e32 v7, s6, v7
	v_add_u32_e32 v4, v4, v6
	ds_read_b128 v[76:79], v5 offset:1024
	ds_read_b128 v[72:75], v7 offset:2048
	v_and_b32_e32 v5, 63, v4
	v_lshrrev_b32_e32 v7, 2, v4
	v_lshl_add_u32 v5, v5, 4, 0
	v_and_b32_e32 v7, 0x3f0, v7
	v_add_u32_e32 v7, s6, v7
	ds_read_b128 v[80:83], v5 offset:29952
	ds_read_b128 v[84:87], v7 offset:1024
	v_lshrrev_b32_e32 v5, 8, v4
	v_add_u32_e32 v4, v4, v6
	v_and_b32_e32 v5, 0x3f0, v5
	v_and_b32_e32 v7, 63, v4
	v_add_u32_e32 v5, s6, v5
	v_lshl_add_u32 v7, v7, 4, 0
	ds_read_b128 v[88:91], v5 offset:2048
	ds_read_b128 v[96:99], v7 offset:29952
	v_lshrrev_b32_e32 v5, 2, v4
	v_lshrrev_b32_e32 v7, 8, v4
	v_and_b32_e32 v5, 0x3f0, v5
	v_and_b32_e32 v7, 0x3f0, v7
	v_add_u32_e32 v5, s6, v5
	v_add_u32_e32 v7, s6, v7
	;; [unrolled: 1-line block ×3, first 2 shown]
	ds_read_b128 v[104:107], v5 offset:1024
	ds_read_b128 v[100:103], v7 offset:2048
	v_and_b32_e32 v5, 63, v4
	v_lshrrev_b32_e32 v7, 2, v4
	v_lshrrev_b32_e32 v12, 8, v4
	v_add_u32_e32 v4, v4, v6
	v_and_b32_e32 v13, 63, v4
	v_lshrrev_b32_e32 v14, 2, v4
	v_lshrrev_b32_e32 v15, 8, v4
	v_add_u32_e32 v4, v4, v6
	v_lshrrev_b32_e32 v124, 2, v4
	v_and_b32_e32 v124, 0x3f0, v124
	v_add_u32_e32 v152, s6, v124
	v_lshrrev_b32_e32 v124, 8, v4
	v_and_b32_e32 v61, 63, v4
	v_and_b32_e32 v124, 0x3f0, v124
	v_add_u32_e32 v4, v4, v6
	v_add_u32_e32 v153, s6, v124
	v_and_b32_e32 v124, 63, v4
	v_lshl_add_u32 v176, v124, 4, 0
	v_lshrrev_b32_e32 v124, 2, v4
	v_and_b32_e32 v124, 0x3f0, v124
	v_add_u32_e32 v177, s6, v124
	v_lshrrev_b32_e32 v124, 8, v4
	v_and_b32_e32 v124, 0x3f0, v124
	v_add_u32_e32 v4, v4, v6
	v_add_u32_e32 v178, s6, v124
	v_and_b32_e32 v124, 63, v4
	v_lshl_add_u32 v196, v124, 4, 0
	v_lshrrev_b32_e32 v124, 2, v4
	v_and_b32_e32 v124, 0x3f0, v124
	v_add_u32_e32 v197, s6, v124
	v_lshrrev_b32_e32 v124, 8, v4
	;; [unrolled: 9-line block ×4, first 2 shown]
	v_and_b32_e32 v124, 0x3f0, v124
	v_add_u32_e32 v4, v4, v6
	v_add_u32_e32 v210, s6, v124
	v_lshrrev_b32_e32 v124, 2, v4
	v_and_b32_e32 v6, 63, v4
	v_and_b32_e32 v124, 0x3f0, v124
	v_lshrrev_b32_e32 v4, 8, v4
	v_lshl_add_u32 v5, v5, 4, 0
	v_and_b32_e32 v7, 0x3f0, v7
	v_and_b32_e32 v12, 0x3f0, v12
	;; [unrolled: 1-line block ×4, first 2 shown]
	v_add_u32_e32 v212, s6, v124
	v_and_b32_e32 v4, 0x3f0, v4
	v_add_u32_e32 v7, s6, v7
	v_add_u32_e32 v12, s6, v12
	v_lshl_add_u32 v13, v13, 4, 0
	v_add_u32_e32 v14, s6, v14
	v_add_u32_e32 v15, s6, v15
	v_lshl_add_u32 v61, v61, 4, 0
	v_lshl_add_u32 v6, v6, 4, 0
	v_add_u32_e32 v4, s6, v4
	ds_read_b128 v[128:131], v5 offset:29952
	ds_read_b128 v[132:135], v7 offset:1024
	;; [unrolled: 1-line block ×24, first 2 shown]
	s_waitcnt lgkmcnt(0)
	s_barrier
	s_and_saveexec_b64 s[6:7], vcc
	s_cbranch_execz .LBB0_21
; %bb.20:
	v_mul_i32_i24_e32 v60, 15, v60
	v_mov_b32_e32 v61, 0
	v_mul_f64 v[4:5], v[250:251], v[254:255]
	v_mul_f64 v[6:7], v[248:249], v[254:255]
	v_lshl_add_u64 v[12:13], v[60:61], 4, s[26:27]
	v_fma_f64 v[4:5], v[248:249], v[252:253], -v[4:5]
	v_fmac_f64_e32 v[6:7], v[250:251], v[252:253]
	global_load_dwordx4 v[250:253], v[12:13], off offset:32
	s_mov_b32 s8, 0x667f3bcd
	s_mov_b32 s9, 0x3fe6a09e
	;; [unrolled: 1-line block ×12, first 2 shown]
	s_waitcnt vmcnt(0)
	v_mul_f64 v[14:15], v[120:121], v[252:253]
	v_fma_f64 v[248:249], v[122:123], v[250:251], -v[14:15]
	v_mul_f64 v[122:123], v[122:123], v[252:253]
	global_load_dwordx4 v[252:255], v[12:13], off offset:160
	v_fmac_f64_e32 v[122:123], v[120:121], v[250:251]
	s_waitcnt vmcnt(0)
	v_mul_f64 v[14:15], v[140:141], v[254:255]
	v_mul_f64 v[250:251], v[142:143], v[254:255]
	v_fma_f64 v[60:61], v[142:143], v[252:253], -v[14:15]
	v_fmac_f64_e32 v[250:251], v[140:141], v[252:253]
	global_load_dwordx4 v[252:255], v[12:13], off offset:96
	v_add_f64 v[60:61], v[248:249], -v[60:61]
	s_waitcnt vmcnt(0)
	v_mul_f64 v[142:143], v[194:195], v[254:255]
	v_mul_f64 v[14:15], v[192:193], v[254:255]
	v_fmac_f64_e32 v[142:143], v[192:193], v[252:253]
	v_fma_f64 v[140:141], v[194:195], v[252:253], -v[14:15]
	global_load_dwordx4 v[192:195], v[12:13], off offset:224
	s_waitcnt vmcnt(0)
	v_mul_f64 v[254:255], v[230:231], v[194:195]
	v_mul_f64 v[14:15], v[228:229], v[194:195]
	v_fmac_f64_e32 v[254:255], v[228:229], v[192:193]
	v_fma_f64 v[194:195], v[230:231], v[192:193], -v[14:15]
	global_load_dwordx4 v[228:231], v[12:13], off offset:16
	v_add_f64 v[194:195], v[140:141], -v[194:195]
	v_fma_f64 v[140:141], v[140:141], 2.0, -v[194:195]
	s_waitcnt vmcnt(0)
	v_mul_f64 v[14:15], v[108:109], v[230:231]
	v_fma_f64 v[120:121], v[110:111], v[228:229], -v[14:15]
	v_mul_f64 v[110:111], v[110:111], v[230:231]
	v_fmac_f64_e32 v[110:111], v[108:109], v[228:229]
	global_load_dwordx4 v[228:231], v[12:13], off offset:144
	s_waitcnt vmcnt(0)
	v_mul_f64 v[14:15], v[156:157], v[230:231]
	v_mul_f64 v[192:193], v[158:159], v[230:231]
	v_fma_f64 v[252:253], v[158:159], v[228:229], -v[14:15]
	v_fmac_f64_e32 v[192:193], v[156:157], v[228:229]
	global_load_dwordx4 v[228:231], v[12:13], off offset:80
	v_add_f64 v[192:193], v[110:111], -v[192:193]
	v_fma_f64 v[110:111], v[110:111], 2.0, -v[192:193]
	s_waitcnt vmcnt(0)
	v_mul_f64 v[158:159], v[190:191], v[230:231]
	v_mul_f64 v[14:15], v[188:189], v[230:231]
	v_fmac_f64_e32 v[158:159], v[188:189], v[228:229]
	v_fma_f64 v[108:109], v[190:191], v[228:229], -v[14:15]
	global_load_dwordx4 v[188:191], v[12:13], off offset:208
	s_waitcnt vmcnt(0)
	v_mul_f64 v[230:231], v[218:219], v[190:191]
	v_mul_f64 v[14:15], v[216:217], v[190:191]
	v_fmac_f64_e32 v[230:231], v[216:217], v[188:189]
	v_fma_f64 v[14:15], v[218:219], v[188:189], -v[14:15]
	global_load_dwordx4 v[216:219], v[12:13], off
	global_load_dwordx4 v[188:191], v[12:13], off offset:128
	v_accvgpr_write_b32 a21, v15
	v_accvgpr_write_b32 a20, v14
	s_waitcnt vmcnt(1)
	v_mul_f64 v[14:15], v[64:65], v[218:219]
	v_mul_f64 v[156:157], v[66:67], v[218:219]
	v_fma_f64 v[228:229], v[66:67], v[216:217], -v[14:15]
	v_fmac_f64_e32 v[156:157], v[64:65], v[216:217]
	s_waitcnt vmcnt(0)
	v_mul_f64 v[14:15], v[172:173], v[190:191]
	v_mul_f64 v[64:65], v[174:175], v[190:191]
	v_fma_f64 v[216:217], v[174:175], v[188:189], -v[14:15]
	v_fmac_f64_e32 v[64:65], v[172:173], v[188:189]
	global_load_dwordx4 v[188:191], v[12:13], off offset:64
	s_waitcnt vmcnt(0)
	v_mul_f64 v[172:173], v[170:171], v[190:191]
	v_mul_f64 v[14:15], v[168:169], v[190:191]
	v_fmac_f64_e32 v[172:173], v[168:169], v[188:189]
	v_fma_f64 v[168:169], v[170:171], v[188:189], -v[14:15]
	global_load_dwordx4 v[188:191], v[12:13], off offset:192
	s_waitcnt vmcnt(0)
	v_mul_f64 v[174:175], v[206:207], v[190:191]
	v_mul_f64 v[14:15], v[204:205], v[190:191]
	v_fmac_f64_e32 v[174:175], v[204:205], v[188:189]
	v_fma_f64 v[66:67], v[206:207], v[188:189], -v[14:15]
	global_load_dwordx4 v[188:191], v[12:13], off offset:48
	v_mul_f64 v[204:205], v[220:221], v[226:227]
	v_fmac_f64_e32 v[204:205], v[222:223], v[224:225]
	v_add_f64 v[206:207], v[228:229], -v[216:217]
	v_mul_f64 v[216:217], v[6:7], v[214:215]
	v_fma_f64 v[216:217], v[212:213], v[4:5], -v[216:217]
	v_mul_f64 v[4:5], v[4:5], v[214:215]
	v_add_f64 v[174:175], v[172:173], -v[174:175]
	v_fmac_f64_e32 v[4:5], v[212:213], v[6:7]
	v_add_f64 v[212:213], v[142:143], -v[254:255]
	v_add_f64 v[6:7], v[206:207], -v[174:175]
	;; [unrolled: 1-line block ×3, first 2 shown]
	v_fma_f64 v[142:143], v[142:143], 2.0, -v[212:213]
	s_waitcnt vmcnt(0)
	v_mul_f64 v[170:171], v[114:115], v[190:191]
	v_mul_f64 v[14:15], v[112:113], v[190:191]
	v_fmac_f64_e32 v[170:171], v[112:113], v[188:189]
	v_fma_f64 v[112:113], v[114:115], v[188:189], -v[14:15]
	global_load_dwordx4 v[188:191], v[12:13], off offset:176
	s_waitcnt vmcnt(0)
	v_mul_f64 v[114:115], v[94:95], v[190:191]
	v_mul_f64 v[14:15], v[92:93], v[190:191]
	v_fmac_f64_e32 v[114:115], v[92:93], v[188:189]
	v_fma_f64 v[92:93], v[94:95], v[188:189], -v[14:15]
	global_load_dwordx4 v[188:191], v[12:13], off offset:112
	v_mul_f64 v[14:15], v[242:243], v[246:247]
	v_fma_f64 v[14:15], v[240:241], v[244:245], -v[14:15]
	v_add_f64 v[92:93], v[112:113], -v[92:93]
	v_add_f64 v[114:115], v[170:171], -v[114:115]
	s_waitcnt vmcnt(0)
	v_mul_f64 v[12:13], v[116:117], v[190:191]
	v_mul_f64 v[94:95], v[118:119], v[190:191]
	v_fma_f64 v[12:13], v[118:119], v[188:189], -v[12:13]
	v_fmac_f64_e32 v[94:95], v[116:117], v[188:189]
	v_mul_f64 v[188:189], v[232:233], v[238:239]
	v_mul_f64 v[118:119], v[234:235], v[238:239]
	v_fmac_f64_e32 v[188:189], v[234:235], v[236:237]
	v_mul_f64 v[190:191], v[222:223], v[226:227]
	v_mul_f64 v[116:117], v[240:241], v[246:247]
	v_fma_f64 v[118:119], v[232:233], v[236:237], -v[118:119]
	v_fma_f64 v[190:191], v[220:221], v[224:225], -v[190:191]
	v_mul_f64 v[224:225], v[188:189], v[202:203]
	v_fmac_f64_e32 v[116:117], v[242:243], v[244:245]
	v_fma_f64 v[224:225], v[200:201], v[118:119], -v[224:225]
	v_mul_f64 v[118:119], v[118:119], v[202:203]
	v_mul_f64 v[202:203], v[204:205], v[198:199]
	;; [unrolled: 1-line block ×3, first 2 shown]
	v_fma_f64 v[202:203], v[196:197], v[190:191], -v[202:203]
	v_mul_f64 v[190:191], v[190:191], v[198:199]
	v_accvgpr_read_b32 v199, a21
	v_fma_f64 v[218:219], v[208:209], v[14:15], -v[218:219]
	v_mul_f64 v[14:15], v[14:15], v[210:211]
	v_accvgpr_read_b32 v198, a20
	v_fmac_f64_e32 v[14:15], v[208:209], v[116:117]
	v_add_f64 v[208:209], v[122:123], -v[250:251]
	v_add_f64 v[222:223], v[158:159], -v[230:231]
	;; [unrolled: 1-line block ×6, first 2 shown]
	v_add_f64 v[210:211], v[208:209], v[194:195]
	v_add_f64 v[220:221], v[120:121], -v[252:253]
	v_add_f64 v[12:13], v[2:3], -v[12:13]
	v_fmac_f64_e32 v[190:191], v[196:197], v[204:205]
	v_add_f64 v[204:205], v[192:193], v[198:199]
	v_add_f64 v[232:233], v[226:227], v[230:231]
	;; [unrolled: 1-line block ×3, first 2 shown]
	v_fmac_f64_e32 v[118:119], v[200:201], v[188:189]
	v_add_f64 v[188:189], v[220:221], -v[222:223]
	v_add_f64 v[200:201], v[12:13], -v[114:115]
	v_fma_f64 v[234:235], s[8:9], v[210:211], v[232:233]
	v_fma_f64 v[240:241], s[8:9], v[204:205], v[238:239]
	;; [unrolled: 1-line block ×4, first 2 shown]
	v_fmac_f64_e32 v[234:235], s[8:9], v[214:215]
	v_fmac_f64_e32 v[240:241], s[8:9], v[188:189]
	v_fmac_f64_e32 v[116:117], s[10:11], v[210:211]
	v_fmac_f64_e32 v[196:197], s[10:11], v[204:205]
	v_fma_f64 v[242:243], s[22:23], v[234:235], v[240:241]
	v_fma_f64 v[236:237], s[22:23], v[116:117], v[196:197]
	v_fmac_f64_e32 v[242:243], s[12:13], v[116:117]
	v_fma_f64 v[92:93], v[112:113], 2.0, -v[92:93]
	v_fma_f64 v[112:113], v[158:159], 2.0, -v[222:223]
	;; [unrolled: 1-line block ×7, first 2 shown]
	v_fmac_f64_e32 v[236:237], s[20:21], v[234:235]
	v_mul_f64 v[64:65], v[242:243], v[4:5]
	v_add_f64 v[156:157], v[114:115], -v[158:159]
	v_fma_f64 v[158:159], v[248:249], 2.0, -v[60:61]
	v_fma_f64 v[120:121], v[120:121], 2.0, -v[220:221]
	v_fma_f64 v[66:67], v[236:237], v[216:217], -v[64:65]
	v_mul_f64 v[64:65], v[236:237], v[4:5]
	v_fma_f64 v[4:5], v[168:169], 2.0, -v[230:231]
	v_fma_f64 v[168:169], v[228:229], 2.0, -v[206:207]
	;; [unrolled: 1-line block ×4, first 2 shown]
	v_add_f64 v[140:141], v[158:159], -v[140:141]
	v_add_f64 v[108:109], v[120:121], -v[108:109]
	;; [unrolled: 1-line block ×3, first 2 shown]
	v_fmac_f64_e32 v[64:65], v[242:243], v[216:217]
	v_add_f64 v[4:5], v[168:169], -v[4:5]
	v_add_f64 v[142:143], v[122:123], -v[142:143]
	;; [unrolled: 1-line block ×4, first 2 shown]
	v_add_f64 v[216:217], v[156:157], v[140:141]
	v_add_f64 v[228:229], v[222:223], v[108:109]
	v_add_f64 v[172:173], v[4:5], -v[142:143]
	v_add_f64 v[212:213], v[194:195], -v[112:113]
	v_fma_f64 v[230:231], s[8:9], v[216:217], v[228:229]
	v_fma_f64 v[170:171], s[8:9], v[172:173], v[212:213]
	v_fmac_f64_e32 v[230:231], s[8:9], v[172:173]
	v_fmac_f64_e32 v[170:171], s[10:11], v[216:217]
	v_mul_f64 v[0:1], v[230:231], v[14:15]
	v_fma_f64 v[2:3], v[170:171], v[218:219], -v[0:1]
	v_mul_f64 v[0:1], v[170:171], v[14:15]
	v_fma_f64 v[14:15], v[60:61], 2.0, -v[214:215]
	v_fma_f64 v[92:93], v[220:221], 2.0, -v[188:189]
	;; [unrolled: 1-line block ×5, first 2 shown]
	v_fmac_f64_e32 v[0:1], v[230:231], v[218:219]
	v_fma_f64 v[60:61], v[208:209], 2.0, -v[210:211]
	v_fma_f64 v[192:193], v[192:193], 2.0, -v[204:205]
	v_fma_f64 v[204:205], s[10:11], v[14:15], v[188:189]
	v_fma_f64 v[206:207], v[226:227], 2.0, -v[232:233]
	v_add_f64 v[174:175], v[120:121], -v[108:109]
	v_fma_f64 v[218:219], v[114:115], 2.0, -v[156:157]
	v_fma_f64 v[108:109], v[122:123], 2.0, -v[142:143]
	v_fmac_f64_e32 v[204:205], s[10:11], v[60:61]
	v_fma_f64 v[12:13], v[12:13], 2.0, -v[200:201]
	v_fma_f64 v[60:61], s[10:11], v[60:61], v[206:207]
	v_add_f64 v[122:123], v[218:219], -v[108:109]
	v_fma_f64 v[168:169], v[168:169], 2.0, -v[4:5]
	v_fma_f64 v[108:109], v[158:159], 2.0, -v[140:141]
	v_fmac_f64_e32 v[60:61], s[8:9], v[14:15]
	v_fma_f64 v[14:15], s[10:11], v[92:93], v[12:13]
	v_fma_f64 v[208:209], v[94:95], 2.0, -v[238:239]
	v_add_f64 v[140:141], v[168:169], -v[108:109]
	v_fma_f64 v[158:159], v[198:199], 2.0, -v[222:223]
	v_fma_f64 v[108:109], v[110:111], 2.0, -v[112:113]
	v_fmac_f64_e32 v[14:15], s[10:11], v[192:193]
	v_fma_f64 v[192:193], s[10:11], v[192:193], v[208:209]
	v_add_f64 v[198:199], v[158:159], -v[108:109]
	v_fmac_f64_e32 v[192:193], s[8:9], v[92:93]
	v_add_f64 v[220:221], v[198:199], v[140:141]
	v_mul_f64 v[114:115], v[182:183], v[186:187]
	v_fma_f64 v[214:215], s[12:13], v[60:61], v[192:193]
	v_add_f64 v[142:143], v[174:175], -v[122:123]
	v_mul_f64 v[108:109], v[220:221], v[190:191]
	v_fma_f64 v[6:7], v[6:7], 2.0, -v[116:117]
	v_fma_f64 v[112:113], v[232:233], 2.0, -v[234:235]
	v_fma_f64 v[114:115], v[180:181], v[184:185], -v[114:115]
	v_mul_f64 v[116:117], v[180:181], v[186:187]
	v_fma_f64 v[180:181], v[238:239], 2.0, -v[240:241]
	v_fma_f64 v[210:211], s[12:13], v[204:205], v[14:15]
	v_fmac_f64_e32 v[214:215], s[22:23], v[204:205]
	v_fma_f64 v[110:111], v[142:143], v[202:203], -v[108:109]
	v_mul_f64 v[108:109], v[142:143], v[190:191]
	v_fma_f64 v[190:191], v[200:201], 2.0, -v[196:197]
	v_fmac_f64_e32 v[116:117], v[182:183], v[184:185]
	v_fma_f64 v[182:183], s[20:21], v[112:113], v[180:181]
	v_fmac_f64_e32 v[210:211], s[26:27], v[60:61]
	v_mul_f64 v[92:93], v[214:215], v[118:119]
	v_fma_f64 v[200:201], s[20:21], v[6:7], v[190:191]
	v_fmac_f64_e32 v[182:183], s[22:23], v[6:7]
	v_mul_f64 v[6:7], v[114:115], v[178:179]
	v_fma_f64 v[94:95], v[210:211], v[224:225], -v[92:93]
	v_mul_f64 v[92:93], v[210:211], v[118:119]
	v_mul_f64 v[118:119], v[116:117], v[178:179]
	v_fmac_f64_e32 v[6:7], v[176:177], v[116:117]
	v_fmac_f64_e32 v[200:201], s[26:27], v[112:113]
	v_fma_f64 v[118:119], v[176:177], v[114:115], -v[118:119]
	v_mul_f64 v[112:113], v[182:183], v[6:7]
	v_fma_f64 v[114:115], v[200:201], v[118:119], -v[112:113]
	v_mul_f64 v[112:113], v[200:201], v[6:7]
	v_mul_f64 v[116:117], v[162:163], v[166:167]
	v_fmac_f64_e32 v[112:113], v[182:183], v[118:119]
	v_fma_f64 v[6:7], v[156:157], 2.0, -v[216:217]
	v_fma_f64 v[116:117], v[160:161], v[164:165], -v[116:117]
	v_mul_f64 v[118:119], v[160:161], v[166:167]
	v_fma_f64 v[160:161], v[222:223], 2.0, -v[228:229]
	v_fma_f64 v[176:177], v[194:195], 2.0, -v[212:213]
	;; [unrolled: 1-line block ×3, first 2 shown]
	v_fmac_f64_e32 v[118:119], v[162:163], v[164:165]
	v_fma_f64 v[162:163], s[10:11], v[6:7], v[160:161]
	v_fma_f64 v[172:173], s[10:11], v[4:5], v[176:177]
	v_fmac_f64_e32 v[162:163], s[8:9], v[4:5]
	v_mul_f64 v[4:5], v[116:117], v[154:155]
	v_mul_f64 v[156:157], v[118:119], v[154:155]
	v_fmac_f64_e32 v[4:5], v[152:153], v[118:119]
	v_fmac_f64_e32 v[172:173], s[10:11], v[6:7]
	v_fma_f64 v[156:157], v[152:153], v[116:117], -v[156:157]
	v_mul_f64 v[6:7], v[162:163], v[4:5]
	v_fma_f64 v[118:119], v[172:173], v[156:157], -v[6:7]
	v_fma_f64 v[6:7], v[206:207], 2.0, -v[60:61]
	v_mul_f64 v[60:61], v[146:147], v[150:151]
	v_fma_f64 v[60:61], v[144:145], v[148:149], -v[60:61]
	v_mul_f64 v[144:145], v[144:145], v[150:151]
	v_fmac_f64_e32 v[144:145], v[146:147], v[148:149]
	v_fma_f64 v[148:149], v[208:209], 2.0, -v[192:193]
	v_mul_f64 v[116:117], v[172:173], v[4:5]
	v_fma_f64 v[12:13], v[12:13], 2.0, -v[14:15]
	v_fma_f64 v[4:5], v[188:189], 2.0, -v[204:205]
	v_mul_f64 v[146:147], v[144:145], v[138:139]
	v_fma_f64 v[150:151], s[26:27], v[6:7], v[148:149]
	v_fma_f64 v[152:153], s[26:27], v[4:5], v[12:13]
	v_fma_f64 v[146:147], v[136:137], v[60:61], -v[146:147]
	v_fmac_f64_e32 v[150:151], s[12:13], v[4:5]
	v_mul_f64 v[4:5], v[60:61], v[138:139]
	v_fma_f64 v[60:61], v[120:121], 2.0, -v[174:175]
	v_fma_f64 v[120:121], v[168:169], 2.0, -v[140:141]
	v_fmac_f64_e32 v[4:5], v[136:137], v[144:145]
	v_add_f64 v[136:137], v[60:61], -v[120:121]
	v_mul_f64 v[120:121], v[130:131], v[134:135]
	v_fma_f64 v[120:121], v[128:129], v[132:133], -v[120:121]
	v_mul_f64 v[128:129], v[128:129], v[134:135]
	v_fmac_f64_e32 v[128:129], v[130:131], v[132:133]
	v_mul_f64 v[130:131], v[128:129], v[126:127]
	v_fma_f64 v[130:131], v[124:125], v[120:121], -v[130:131]
	v_mul_f64 v[120:121], v[120:121], v[126:127]
	v_mul_f64 v[126:127], v[98:99], v[106:107]
	v_fma_f64 v[126:127], v[96:97], v[104:105], -v[126:127]
	v_mul_f64 v[96:97], v[96:97], v[106:107]
	v_fmac_f64_e32 v[96:97], v[98:99], v[104:105]
	v_mul_f64 v[98:99], v[96:97], v[102:103]
	v_mul_f64 v[102:103], v[126:127], v[102:103]
	v_fma_f64 v[106:107], v[240:241], 2.0, -v[242:243]
	v_fmac_f64_e32 v[102:103], v[100:101], v[96:97]
	v_fmac_f64_e32 v[120:121], v[124:125], v[128:129]
	v_fma_f64 v[124:125], v[196:197], 2.0, -v[236:237]
	v_fma_f64 v[104:105], v[100:101], v[126:127], -v[98:99]
	v_mul_f64 v[96:97], v[106:107], v[102:103]
	v_fma_f64 v[98:99], v[124:125], v[104:105], -v[96:97]
	v_mul_f64 v[96:97], v[124:125], v[102:103]
	v_mul_f64 v[102:103], v[82:83], v[86:87]
	v_fma_f64 v[102:103], v[80:81], v[84:85], -v[102:103]
	v_mul_f64 v[80:81], v[80:81], v[86:87]
	v_fmac_f64_e32 v[80:81], v[82:83], v[84:85]
	v_mul_f64 v[82:83], v[80:81], v[90:91]
	v_mul_f64 v[90:91], v[102:103], v[90:91]
	v_fma_f64 v[86:87], v[228:229], 2.0, -v[230:231]
	v_fmac_f64_e32 v[90:91], v[88:89], v[80:81]
	v_fma_f64 v[100:101], v[212:213], 2.0, -v[170:171]
	v_fma_f64 v[84:85], v[88:89], v[102:103], -v[82:83]
	v_mul_f64 v[80:81], v[86:87], v[90:91]
	v_fma_f64 v[82:83], v[100:101], v[84:85], -v[80:81]
	v_mul_f64 v[80:81], v[100:101], v[90:91]
	v_fmac_f64_e32 v[80:81], v[86:87], v[84:85]
	v_mul_f64 v[84:85], v[70:71], v[78:79]
	v_fma_f64 v[84:85], v[68:69], v[76:77], -v[84:85]
	v_mul_f64 v[68:69], v[68:69], v[78:79]
	v_fmac_f64_e32 v[68:69], v[70:71], v[76:77]
	v_mul_f64 v[70:71], v[68:69], v[74:75]
	v_mul_f64 v[74:75], v[84:85], v[74:75]
	v_fma_f64 v[76:77], v[72:73], v[84:85], -v[70:71]
	v_fmac_f64_e32 v[74:75], v[72:73], v[68:69]
	v_mul_f64 v[72:73], v[54:55], v[58:59]
	v_fma_f64 v[72:73], v[52:53], v[56:57], -v[72:73]
	v_mul_f64 v[52:53], v[52:53], v[58:59]
	v_fmac_f64_e32 v[52:53], v[54:55], v[56:57]
	v_mul_f64 v[58:59], v[72:73], v[10:11]
	v_mul_f64 v[54:55], v[52:53], v[10:11]
	v_fmac_f64_e32 v[58:59], v[8:9], v[52:53]
	v_mul_f64 v[52:53], v[42:43], v[50:51]
	v_fma_f64 v[52:53], v[40:41], v[48:49], -v[52:53]
	v_mul_f64 v[40:41], v[40:41], v[50:51]
	v_fmac_f64_e32 v[40:41], v[42:43], v[48:49]
	v_mul_f64 v[42:43], v[40:41], v[46:47]
	v_mul_f64 v[46:47], v[52:53], v[46:47]
	v_fma_f64 v[48:49], v[44:45], v[52:53], -v[42:43]
	v_fmac_f64_e32 v[46:47], v[44:45], v[40:41]
	v_mul_f64 v[44:45], v[30:31], v[34:35]
	v_fma_f64 v[78:79], v[192:193], 2.0, -v[214:215]
	v_fma_f64 v[44:45], v[28:29], v[32:33], -v[44:45]
	v_mul_f64 v[28:29], v[28:29], v[34:35]
	v_fma_f64 v[14:15], v[14:15], 2.0, -v[210:211]
	v_mul_f64 v[68:69], v[78:79], v[74:75]
	v_fma_f64 v[56:57], v[198:199], 2.0, -v[220:221]
	v_fmac_f64_e32 v[28:29], v[30:31], v[32:33]
	v_fma_f64 v[70:71], v[14:15], v[76:77], -v[68:69]
	v_mul_f64 v[68:69], v[14:15], v[74:75]
	v_fma_f64 v[14:15], v[174:175], 2.0, -v[142:143]
	v_fma_f64 v[54:55], v[8:9], v[72:73], -v[54:55]
	v_mul_f64 v[8:9], v[56:57], v[58:59]
	v_fma_f64 v[50:51], v[180:181], 2.0, -v[182:183]
	v_mul_f64 v[30:31], v[28:29], v[38:39]
	v_mul_f64 v[38:39], v[44:45], v[38:39]
	v_fma_f64 v[10:11], v[14:15], v[54:55], -v[8:9]
	v_mul_f64 v[8:9], v[14:15], v[58:59]
	v_fma_f64 v[14:15], v[190:191], 2.0, -v[200:201]
	v_mul_f64 v[40:41], v[50:51], v[46:47]
	v_fma_f64 v[34:35], v[160:161], 2.0, -v[162:163]
	v_fmac_f64_e32 v[38:39], v[36:37], v[28:29]
	v_fma_f64 v[42:43], v[14:15], v[48:49], -v[40:41]
	v_mul_f64 v[40:41], v[14:15], v[46:47]
	v_fma_f64 v[14:15], v[176:177], 2.0, -v[172:173]
	v_fma_f64 v[32:33], v[36:37], v[44:45], -v[30:31]
	v_mul_f64 v[28:29], v[34:35], v[38:39]
	v_fma_f64 v[30:31], v[14:15], v[32:33], -v[28:29]
	v_mul_f64 v[28:29], v[14:15], v[38:39]
	v_mul_f64 v[14:15], v[18:19], v[26:27]
	v_fma_f64 v[14:15], v[16:17], v[24:25], -v[14:15]
	v_mul_f64 v[16:17], v[16:17], v[26:27]
	v_fmac_f64_e32 v[16:17], v[18:19], v[24:25]
	v_mul_f64 v[18:19], v[16:17], v[22:23]
	v_fma_f64 v[24:25], v[20:21], v[14:15], -v[18:19]
	v_mul_f64 v[14:15], v[14:15], v[22:23]
	v_fmac_f64_e32 v[152:153], s[20:21], v[6:7]
	v_fma_f64 v[26:27], v[148:149], 2.0, -v[150:151]
	v_fmac_f64_e32 v[14:15], v[20:21], v[16:17]
	v_fma_f64 v[12:13], v[12:13], 2.0, -v[152:153]
	v_mul_f64 v[16:17], v[26:27], v[14:15]
	v_fma_f64 v[18:19], v[12:13], v[24:25], -v[16:17]
	v_mul_f64 v[16:17], v[12:13], v[14:15]
	v_fmac_f64_e32 v[16:17], v[26:27], v[24:25]
	v_accvgpr_read_b32 v23, a11
	v_accvgpr_read_b32 v27, a15
	;; [unrolled: 1-line block ×4, first 2 shown]
	v_fmac_f64_e32 v[28:29], v[34:35], v[32:33]
	v_accvgpr_read_b32 v21, a9
	v_accvgpr_read_b32 v20, a8
	;; [unrolled: 1-line block ×4, first 2 shown]
	v_mul_f64 v[14:15], v[22:23], v[26:27]
	v_accvgpr_read_b32 v35, a19
	v_fma_f64 v[132:133], v[158:159], 2.0, -v[198:199]
	v_fma_f64 v[122:123], v[218:219], 2.0, -v[122:123]
	v_fma_f64 v[14:15], v[20:21], v[24:25], -v[14:15]
	v_mul_f64 v[20:21], v[20:21], v[26:27]
	v_accvgpr_read_b32 v34, a18
	v_add_f64 v[134:135], v[132:133], -v[122:123]
	v_fmac_f64_e32 v[20:21], v[22:23], v[24:25]
	v_accvgpr_read_b32 v33, a17
	v_accvgpr_read_b32 v32, a16
	v_mul_f64 v[26:27], v[14:15], v[34:35]
	v_mul_f64 v[22:23], v[20:21], v[34:35]
	v_fma_f64 v[24:25], v[132:133], 2.0, -v[134:135]
	v_fmac_f64_e32 v[26:27], v[32:33], v[20:21]
	v_fma_f64 v[12:13], v[60:61], 2.0, -v[136:137]
	v_fma_f64 v[22:23], v[32:33], v[14:15], -v[22:23]
	v_mul_f64 v[14:15], v[26:27], v[24:25]
	v_fma_f64 v[14:15], v[22:23], v[12:13], -v[14:15]
	v_mul_f64 v[12:13], v[26:27], v[12:13]
	v_mul_f64 v[6:7], v[150:151], v[4:5]
	;; [unrolled: 1-line block ×5, first 2 shown]
	v_fmac_f64_e32 v[12:13], v[22:23], v[24:25]
	v_accvgpr_read_b32 v20, a6
	v_fmac_f64_e32 v[92:93], v[214:215], v[224:225]
	v_fmac_f64_e32 v[108:109], v[220:221], v[202:203]
	;; [unrolled: 1-line block ×3, first 2 shown]
	v_fma_f64 v[6:7], v[152:153], v[146:147], -v[6:7]
	v_fmac_f64_e32 v[4:5], v[150:151], v[146:147]
	v_fma_f64 v[122:123], v[136:137], v[130:131], -v[122:123]
	v_fmac_f64_e32 v[120:121], v[134:135], v[130:131]
	v_fmac_f64_e32 v[96:97], v[106:107], v[104:105]
	;; [unrolled: 1-line block ×5, first 2 shown]
	ds_write_b128 v20, v[12:15]
	ds_write_b128 v63, v[16:19] offset:208
	ds_write_b128 v63, v[28:31] offset:416
	;; [unrolled: 1-line block ×15, first 2 shown]
.LBB0_21:
	s_or_b64 exec, exec, s[6:7]
	s_waitcnt lgkmcnt(0)
	s_barrier
	s_and_saveexec_b64 s[6:7], s[0:1]
	s_cbranch_execz .LBB0_23
; %bb.22:
	s_mul_i32 s0, s3, s24
	s_mul_hi_u32 s1, s2, s24
	v_accvgpr_read_b32 v2, a4
	s_add_i32 s1, s1, s0
	s_mul_i32 s0, s2, s24
	v_mad_u64_u32 v[4:5], s[2:3], s18, v2, 0
	v_mov_b32_e32 v0, v5
	v_mad_u64_u32 v[0:1], s[2:3], s19, v2, v[0:1]
	v_mad_u64_u32 v[6:7], s[2:3], s16, v62, 0
	v_mov_b32_e32 v5, v0
	v_mov_b32_e32 v0, v7
	v_mad_u64_u32 v[0:1], s[2:3], s17, v62, v[0:1]
	s_movk_i32 s2, 0xd00
	v_mov_b32_e32 v7, v0
	v_mul_lo_u32 v0, v2, s2
	v_accvgpr_read_b32 v1, a5
	s_lshl_b64 s[0:1], s[0:1], 4
	v_add3_u32 v12, 0, v0, v1
	s_add_u32 s2, s14, s0
	s_addc_u32 s3, s15, s1
	s_lshl_b64 s[0:1], s[4:5], 4
	ds_read_b128 v[0:3], v12
	s_add_u32 s0, s2, s0
	s_addc_u32 s1, s3, s1
	v_lshl_add_u64 v[8:9], v[4:5], 4, s[0:1]
	v_lshl_add_u64 v[10:11], v[6:7], 4, v[8:9]
	ds_read_b128 v[4:7], v12 offset:256
	s_waitcnt lgkmcnt(1)
	global_store_dwordx4 v[10:11], v[0:3], off
	s_nop 1
	v_accvgpr_read_b32 v3, a3
	v_mad_u64_u32 v[0:1], s[0:1], s16, v3, 0
	v_mov_b32_e32 v2, v1
	v_mad_u64_u32 v[2:3], s[0:1], s17, v3, v[2:3]
	v_mov_b32_e32 v1, v2
	v_lshl_add_u64 v[0:1], v[0:1], 4, v[8:9]
	s_waitcnt lgkmcnt(0)
	global_store_dwordx4 v[0:1], v[4:7], off
	ds_read_b128 v[0:3], v12 offset:512
	s_nop 0
	v_accvgpr_read_b32 v7, a2
	v_mad_u64_u32 v[4:5], s[0:1], s16, v7, 0
	v_mov_b32_e32 v6, v5
	v_mad_u64_u32 v[6:7], s[0:1], s17, v7, v[6:7]
	v_mov_b32_e32 v5, v6
	v_lshl_add_u64 v[10:11], v[4:5], 4, v[8:9]
	ds_read_b128 v[4:7], v12 offset:768
	s_waitcnt lgkmcnt(1)
	global_store_dwordx4 v[10:11], v[0:3], off
	s_nop 1
	v_accvgpr_read_b32 v3, a1
	v_mad_u64_u32 v[0:1], s[0:1], s16, v3, 0
	v_mov_b32_e32 v2, v1
	v_mad_u64_u32 v[2:3], s[0:1], s17, v3, v[2:3]
	v_mov_b32_e32 v1, v2
	v_lshl_add_u64 v[0:1], v[0:1], 4, v[8:9]
	s_waitcnt lgkmcnt(0)
	global_store_dwordx4 v[0:1], v[4:7], off
	ds_read_b128 v[0:3], v12 offset:1024
	s_nop 0
	v_accvgpr_read_b32 v7, a0
	v_mad_u64_u32 v[4:5], s[0:1], s16, v7, 0
	v_mov_b32_e32 v6, v5
	v_mad_u64_u32 v[6:7], s[0:1], s17, v7, v[6:7]
	v_mov_b32_e32 v5, v6
	v_lshl_add_u64 v[10:11], v[4:5], 4, v[8:9]
	ds_read_b128 v[4:7], v12 offset:1280
	s_waitcnt lgkmcnt(1)
	global_store_dwordx4 v[10:11], v[0:3], off
	s_nop 1
	v_add_u32_e32 v3, 0x50, v62
	v_mad_u64_u32 v[0:1], s[0:1], s16, v3, 0
	v_mov_b32_e32 v2, v1
	v_mad_u64_u32 v[2:3], s[0:1], s17, v3, v[2:3]
	v_mov_b32_e32 v1, v2
	v_lshl_add_u64 v[0:1], v[0:1], 4, v[8:9]
	s_waitcnt lgkmcnt(0)
	global_store_dwordx4 v[0:1], v[4:7], off
	ds_read_b128 v[0:3], v12 offset:1536
	s_nop 0
	v_or_b32_e32 v7, 0x60, v62
	v_mad_u64_u32 v[4:5], s[0:1], s16, v7, 0
	v_mov_b32_e32 v6, v5
	v_mad_u64_u32 v[6:7], s[0:1], s17, v7, v[6:7]
	v_mov_b32_e32 v5, v6
	v_lshl_add_u64 v[10:11], v[4:5], 4, v[8:9]
	ds_read_b128 v[4:7], v12 offset:1792
	s_waitcnt lgkmcnt(1)
	global_store_dwordx4 v[10:11], v[0:3], off
	s_nop 1
	v_add_u32_e32 v3, 0x70, v62
	v_mad_u64_u32 v[0:1], s[0:1], s16, v3, 0
	v_mov_b32_e32 v2, v1
	v_mad_u64_u32 v[2:3], s[0:1], s17, v3, v[2:3]
	v_mov_b32_e32 v1, v2
	v_lshl_add_u64 v[0:1], v[0:1], 4, v[8:9]
	s_waitcnt lgkmcnt(0)
	global_store_dwordx4 v[0:1], v[4:7], off
	ds_read_b128 v[0:3], v12 offset:2048
	s_nop 0
	v_or_b32_e32 v7, 0x80, v62
	;; [unrolled: 20-line block ×4, first 2 shown]
	v_mad_u64_u32 v[4:5], s[0:1], s16, v7, 0
	v_mov_b32_e32 v6, v5
	v_mad_u64_u32 v[6:7], s[0:1], s17, v7, v[6:7]
	v_mov_b32_e32 v5, v6
	v_lshl_add_u64 v[4:5], v[4:5], 4, v[8:9]
	s_waitcnt lgkmcnt(0)
	global_store_dwordx4 v[4:5], v[0:3], off
.LBB0_23:
	s_endpgm
	.section	.rodata,"a",@progbits
	.p2align	6, 0x0
	.amdhsa_kernel fft_rtc_back_len208_factors_13_16_wgs_144_tpt_16_dp_op_CI_CI_sbcc_twdbase6_3step
		.amdhsa_group_segment_fixed_size 0
		.amdhsa_private_segment_fixed_size 0
		.amdhsa_kernarg_size 112
		.amdhsa_user_sgpr_count 2
		.amdhsa_user_sgpr_dispatch_ptr 0
		.amdhsa_user_sgpr_queue_ptr 0
		.amdhsa_user_sgpr_kernarg_segment_ptr 1
		.amdhsa_user_sgpr_dispatch_id 0
		.amdhsa_user_sgpr_kernarg_preload_length 0
		.amdhsa_user_sgpr_kernarg_preload_offset 0
		.amdhsa_user_sgpr_private_segment_size 0
		.amdhsa_uses_dynamic_stack 0
		.amdhsa_enable_private_segment 0
		.amdhsa_system_sgpr_workgroup_id_x 1
		.amdhsa_system_sgpr_workgroup_id_y 0
		.amdhsa_system_sgpr_workgroup_id_z 0
		.amdhsa_system_sgpr_workgroup_info 0
		.amdhsa_system_vgpr_workitem_id 0
		.amdhsa_next_free_vgpr 278
		.amdhsa_next_free_sgpr 55
		.amdhsa_accum_offset 256
		.amdhsa_reserve_vcc 1
		.amdhsa_float_round_mode_32 0
		.amdhsa_float_round_mode_16_64 0
		.amdhsa_float_denorm_mode_32 3
		.amdhsa_float_denorm_mode_16_64 3
		.amdhsa_dx10_clamp 1
		.amdhsa_ieee_mode 1
		.amdhsa_fp16_overflow 0
		.amdhsa_tg_split 0
		.amdhsa_exception_fp_ieee_invalid_op 0
		.amdhsa_exception_fp_denorm_src 0
		.amdhsa_exception_fp_ieee_div_zero 0
		.amdhsa_exception_fp_ieee_overflow 0
		.amdhsa_exception_fp_ieee_underflow 0
		.amdhsa_exception_fp_ieee_inexact 0
		.amdhsa_exception_int_div_zero 0
	.end_amdhsa_kernel
	.text
.Lfunc_end0:
	.size	fft_rtc_back_len208_factors_13_16_wgs_144_tpt_16_dp_op_CI_CI_sbcc_twdbase6_3step, .Lfunc_end0-fft_rtc_back_len208_factors_13_16_wgs_144_tpt_16_dp_op_CI_CI_sbcc_twdbase6_3step
                                        ; -- End function
	.section	.AMDGPU.csdata,"",@progbits
; Kernel info:
; codeLenInByte = 12516
; NumSgprs: 61
; NumVgprs: 256
; NumAgprs: 22
; TotalNumVgprs: 278
; ScratchSize: 0
; MemoryBound: 0
; FloatMode: 240
; IeeeMode: 1
; LDSByteSize: 0 bytes/workgroup (compile time only)
; SGPRBlocks: 7
; VGPRBlocks: 34
; NumSGPRsForWavesPerEU: 61
; NumVGPRsForWavesPerEU: 278
; AccumOffset: 256
; Occupancy: 1
; WaveLimiterHint : 1
; COMPUTE_PGM_RSRC2:SCRATCH_EN: 0
; COMPUTE_PGM_RSRC2:USER_SGPR: 2
; COMPUTE_PGM_RSRC2:TRAP_HANDLER: 0
; COMPUTE_PGM_RSRC2:TGID_X_EN: 1
; COMPUTE_PGM_RSRC2:TGID_Y_EN: 0
; COMPUTE_PGM_RSRC2:TGID_Z_EN: 0
; COMPUTE_PGM_RSRC2:TIDIG_COMP_CNT: 0
; COMPUTE_PGM_RSRC3_GFX90A:ACCUM_OFFSET: 63
; COMPUTE_PGM_RSRC3_GFX90A:TG_SPLIT: 0
	.text
	.p2alignl 6, 3212836864
	.fill 256, 4, 3212836864
	.type	__hip_cuid_542fd75ccfb64b25,@object ; @__hip_cuid_542fd75ccfb64b25
	.section	.bss,"aw",@nobits
	.globl	__hip_cuid_542fd75ccfb64b25
__hip_cuid_542fd75ccfb64b25:
	.byte	0                               ; 0x0
	.size	__hip_cuid_542fd75ccfb64b25, 1

	.ident	"AMD clang version 19.0.0git (https://github.com/RadeonOpenCompute/llvm-project roc-6.4.0 25133 c7fe45cf4b819c5991fe208aaa96edf142730f1d)"
	.section	".note.GNU-stack","",@progbits
	.addrsig
	.addrsig_sym __hip_cuid_542fd75ccfb64b25
	.amdgpu_metadata
---
amdhsa.kernels:
  - .agpr_count:     22
    .args:
      - .actual_access:  read_only
        .address_space:  global
        .offset:         0
        .size:           8
        .value_kind:     global_buffer
      - .address_space:  global
        .offset:         8
        .size:           8
        .value_kind:     global_buffer
      - .offset:         16
        .size:           8
        .value_kind:     by_value
      - .actual_access:  read_only
        .address_space:  global
        .offset:         24
        .size:           8
        .value_kind:     global_buffer
      - .actual_access:  read_only
        .address_space:  global
        .offset:         32
        .size:           8
        .value_kind:     global_buffer
      - .actual_access:  read_only
        .address_space:  global
        .offset:         40
        .size:           8
        .value_kind:     global_buffer
      - .offset:         48
        .size:           8
        .value_kind:     by_value
      - .actual_access:  read_only
        .address_space:  global
        .offset:         56
        .size:           8
        .value_kind:     global_buffer
      - .actual_access:  read_only
        .address_space:  global
        .offset:         64
        .size:           8
        .value_kind:     global_buffer
      - .offset:         72
        .size:           4
        .value_kind:     by_value
      - .actual_access:  read_only
        .address_space:  global
        .offset:         80
        .size:           8
        .value_kind:     global_buffer
      - .actual_access:  read_only
        .address_space:  global
        .offset:         88
        .size:           8
        .value_kind:     global_buffer
      - .actual_access:  read_only
        .address_space:  global
        .offset:         96
        .size:           8
        .value_kind:     global_buffer
      - .actual_access:  write_only
        .address_space:  global
        .offset:         104
        .size:           8
        .value_kind:     global_buffer
    .group_segment_fixed_size: 0
    .kernarg_segment_align: 8
    .kernarg_segment_size: 112
    .language:       OpenCL C
    .language_version:
      - 2
      - 0
    .max_flat_workgroup_size: 144
    .name:           fft_rtc_back_len208_factors_13_16_wgs_144_tpt_16_dp_op_CI_CI_sbcc_twdbase6_3step
    .private_segment_fixed_size: 0
    .sgpr_count:     61
    .sgpr_spill_count: 0
    .symbol:         fft_rtc_back_len208_factors_13_16_wgs_144_tpt_16_dp_op_CI_CI_sbcc_twdbase6_3step.kd
    .uniform_work_group_size: 1
    .uses_dynamic_stack: false
    .vgpr_count:     278
    .vgpr_spill_count: 0
    .wavefront_size: 64
amdhsa.target:   amdgcn-amd-amdhsa--gfx950
amdhsa.version:
  - 1
  - 2
...

	.end_amdgpu_metadata
